;; amdgpu-corpus repo=zjin-lcf/HeCBench kind=compiled arch=gfx950 opt=O3
	.amdgcn_target "amdgcn-amd-amdhsa--gfx950"
	.amdhsa_code_object_version 6
	.text
	.p2align	2                               ; -- Begin function _Z17MT_generate_arrayv
	.type	_Z17MT_generate_arrayv,@function
_Z17MT_generate_arrayv:                 ; @_Z17MT_generate_arrayv
; %bb.0:
	s_waitcnt vmcnt(0) expcnt(0) lgkmcnt(0)
	v_bfe_u32 v4, v31, 5, 5
	v_lshlrev_b32_e32 v0, 4, v4
	ds_read_b128 v[0:3], v0 offset:17280
	v_and_b32_e32 v5, 31, v31
	s_waitcnt lgkmcnt(0)
	v_sub_u32_e32 v6, 0x65, v0
	v_min_i32_e32 v6, 0x60, v6
	v_cmp_lt_u32_e32 vcc, v5, v6
	s_and_saveexec_b64 s[0:1], vcc
	s_cbranch_execz .LBB0_3
; %bb.1:
	s_mov_b64 s[2:3], src_shared_base
	s_movk_i32 s2, 0x194
	v_lshlrev_b32_e32 v9, 2, v0
	v_mov_b32_e32 v8, 0x3140
	v_mad_u32_u24 v9, v4, s2, v9
	s_movk_i32 s2, 0x180
	v_mov_b32_e32 v11, 0x1940
	v_mul_u32_u24_e32 v7, 0x194, v4
	v_lshl_add_u32 v8, v4, 7, v8
	v_lshlrev_b32_e32 v10, 2, v5
	v_mad_u32_u24 v11, v4, s2, v11
	s_mov_b64 s[4:5], 0
	v_mov_b32_e32 v12, v5
.LBB0_2:                                ; =>This Inner Loop Header: Depth=1
	v_add_u32_e32 v14, v7, v10
	v_mov_b32_e32 v15, s3
	flat_load_dword v13, v[14:15] sc0 sc1
	s_waitcnt vmcnt(0)
	v_add_u32_e32 v18, 4, v14
	v_mov_b32_e32 v19, s3
	v_add_u32_e32 v16, v9, v10
	v_mov_b32_e32 v17, s3
	flat_load_dword v20, v[18:19] sc0 sc1
	s_waitcnt vmcnt(0)
	flat_load_dword v21, v[16:17] sc0 sc1
	s_waitcnt vmcnt(0)
	v_add_u32_e32 v16, -4, v16
	v_add_u32_e32 v12, 32, v12
	v_cmp_ge_u32_e32 vcc, v12, v6
	v_add_u32_e32 v9, 0x80, v9
	v_add_u32_e32 v7, 0x80, v7
	s_or_b64 s[4:5], vcc, s[4:5]
	s_waitcnt lgkmcnt(0)
	v_bitop3_b32 v13, v13, v20, v3 bitop3:0x6c
	v_lshrrev_b32_e32 v18, v2, v21
	v_lshlrev_b32_e32 v19, v1, v13
	v_xor_b32_e32 v18, v18, v19
	v_bitop3_b32 v19, v18, 15, v13 bitop3:0x48
	v_lshl_add_u32 v19, v19, 2, v8
	ds_read_b32 v19, v19
	flat_load_dword v20, v[16:17] sc0 sc1
	s_waitcnt vmcnt(0)
	v_xor_b32_e32 v13, v18, v13
	v_add_u32_e32 v16, v11, v10
	v_add_u32_e32 v11, 0x80, v11
	s_waitcnt lgkmcnt(0)
	v_xor_b32_e32 v13, v13, v19
	v_lshrrev_b32_e32 v18, 9, v13
	v_xor_b32_sdwa v20, v20, v20 dst_sel:DWORD dst_unused:UNUSED_PAD src0_sel:WORD_1 src1_sel:DWORD
	v_lshrrev_b32_e32 v21, 8, v20
	v_bitop3_b32 v20, v21, 15, v20 bitop3:0x48
	v_lshl_add_u32 v20, v20, 2, v8
	ds_read_b32 v20, v20 offset:64
	s_waitcnt lgkmcnt(0)
	v_bitop3_b32 v18, v18, 1, v20 bitop3:0xde
	v_add_f32_e32 v18, -1.0, v18
	flat_store_dword v[16:17], v18 sc0 sc1
	s_waitcnt vmcnt(0)
	flat_store_dword v[14:15], v13 sc0 sc1
	s_waitcnt vmcnt(0)
	s_andn2_b64 exec, exec, s[4:5]
	s_cbranch_execnz .LBB0_2
.LBB0_3:
	s_or_b64 exec, exec, s[0:1]
	v_add_u32_e32 v9, v6, v5
	s_movk_i32 s8, 0x65
	v_cmp_gt_i32_e32 vcc, s8, v9
	s_and_saveexec_b64 s[0:1], vcc
	s_cbranch_execz .LBB0_8
; %bb.4:
	s_mov_b64 s[2:3], src_shared_base
	v_mul_u32_u24_e32 v8, 0x180, v4
	v_lshlrev_b32_e32 v10, 2, v9
	s_movk_i32 s2, 0x1940
	v_add_u32_e32 v6, v0, v6
	v_mov_b32_e32 v7, 0x3140
	v_add3_u32 v8, v8, v10, s2
	v_add_lshl_u32 v5, v6, v5, 2
	s_movk_i32 s2, 0x194
	v_lshl_add_u32 v7, v4, 7, v7
	v_subrev_u32_e32 v11, 32, v9
	v_mad_u32_u24 v6, v4, s2, v5
	v_mad_u32_u24 v9, v4, s2, v10
	s_mov_b32 s2, 0
	s_mov_b64 s[4:5], 0
	s_movk_i32 s9, 0x44
	v_mov_b32_e32 v10, 0xfffffe6c
	s_movk_i32 s10, 0x60
	s_branch .LBB0_6
.LBB0_5:                                ;   in Loop: Header=BB0_6 Depth=1
	s_or_b64 exec, exec, s[6:7]
	s_addk_i32 s2, 0x80
	v_cmp_lt_i32_e32 vcc, s9, v11
	s_or_b64 s[4:5], vcc, s[4:5]
	flat_store_dword v[4:5], v12 sc0 sc1
	s_waitcnt vmcnt(0)
	s_andn2_b64 exec, exec, s[4:5]
	s_cbranch_execz .LBB0_8
.LBB0_6:                                ; =>This Inner Loop Header: Depth=1
	v_cmp_eq_u32_e32 vcc, s9, v11
	v_add_u32_e32 v4, s2, v9
	v_mov_b32_e32 v5, s3
	v_cndmask_b32_e32 v12, 0, v10, vcc
	v_add3_u32 v12, v4, v12, 4
	v_mov_b32_e32 v13, s3
	flat_load_dword v15, v[4:5] sc0 sc1
	s_waitcnt vmcnt(0)
	v_mov_b32_e32 v17, s3
	flat_load_dword v12, v[12:13] sc0 sc1
	s_waitcnt vmcnt(0)
	v_add_u32_e32 v13, v0, v11
	v_add_u32_e32 v14, 32, v13
	v_cmp_gt_u32_e32 vcc, s8, v14
	v_add_u32_e32 v14, s2, v6
	v_add_u32_e32 v11, 32, v11
	v_cndmask_b32_e64 v16, v10, 0, vcc
	v_add_u32_e32 v16, v14, v16
	flat_load_dword v16, v[16:17] sc0 sc1
	s_waitcnt vmcnt(0)
	v_cmp_gt_i32_e32 vcc, s10, v11
	s_waitcnt lgkmcnt(0)
	v_bitop3_b32 v12, v15, v12, v3 bitop3:0x6c
	v_lshlrev_b32_e32 v15, v1, v12
	v_lshrrev_b32_e32 v16, v2, v16
	v_xor_b32_e32 v15, v16, v15
	v_bitop3_b32 v16, v15, 15, v12 bitop3:0x48
	v_lshl_add_u32 v16, v16, 2, v7
	ds_read_b32 v16, v16
	v_xor_b32_e32 v12, v15, v12
	s_waitcnt lgkmcnt(0)
	v_xor_b32_e32 v12, v12, v16
	s_and_saveexec_b64 s[6:7], vcc
	s_cbranch_execz .LBB0_5
; %bb.7:                                ;   in Loop: Header=BB0_6 Depth=1
	v_add_u32_e32 v13, 31, v13
	v_cmp_gt_u32_e32 vcc, s8, v13
	v_mov_b32_e32 v15, s3
	s_nop 0
	v_cndmask_b32_e64 v13, v10, 0, vcc
	v_add3_u32 v14, v14, v13, -4
	flat_load_dword v13, v[14:15] sc0 sc1
	s_waitcnt vmcnt(0) lgkmcnt(0)
	v_xor_b32_sdwa v13, v13, v13 dst_sel:DWORD dst_unused:UNUSED_PAD src0_sel:WORD_1 src1_sel:DWORD
	v_lshrrev_b32_e32 v14, 8, v13
	v_bitop3_b32 v13, v14, 15, v13 bitop3:0x48
	v_lshl_add_u32 v13, v13, 2, v7
	ds_read_b32 v13, v13 offset:64
	v_lshrrev_b32_e32 v14, 9, v12
	s_waitcnt lgkmcnt(0)
	v_bitop3_b32 v13, v13, 1, v14 bitop3:0xde
	v_add_f32_e32 v13, -1.0, v13
	v_add_u32_e32 v14, s2, v8
	flat_store_dword v[14:15], v13 sc0 sc1
	s_waitcnt vmcnt(0)
	s_branch .LBB0_5
.LBB0_8:
	s_or_b64 exec, exec, s[0:1]
	s_waitcnt lgkmcnt(0)
	s_setpc_b64 s[30:31]
.Lfunc_end0:
	.size	_Z17MT_generate_arrayv, .Lfunc_end0-_Z17MT_generate_arrayv
                                        ; -- End function
	.set .L_Z17MT_generate_arrayv.num_vgpr, 32
	.set .L_Z17MT_generate_arrayv.num_agpr, 0
	.set .L_Z17MT_generate_arrayv.numbered_sgpr, 32
	.set .L_Z17MT_generate_arrayv.num_named_barrier, 0
	.set .L_Z17MT_generate_arrayv.private_seg_size, 0
	.set .L_Z17MT_generate_arrayv.uses_vcc, 1
	.set .L_Z17MT_generate_arrayv.uses_flat_scratch, 0
	.set .L_Z17MT_generate_arrayv.has_dyn_sized_stack, 0
	.set .L_Z17MT_generate_arrayv.has_recursion, 0
	.set .L_Z17MT_generate_arrayv.has_indirect_call, 0
	.section	.AMDGPU.csdata,"",@progbits
; Function info:
; codeLenInByte = 872
; TotalNumSgprs: 38
; NumVgprs: 32
; NumAgprs: 0
; TotalNumVgprs: 32
; ScratchSize: 0
; MemoryBound: 0
	.text
	.protected	_Z22simulation_step_kernelbb ; -- Begin function _Z22simulation_step_kernelbb
	.globl	_Z22simulation_step_kernelbb
	.p2align	8
	.type	_Z22simulation_step_kernelbb,@function
_Z22simulation_step_kernelbb:           ; @_Z22simulation_step_kernelbb
; %bb.0:
	s_mov_b64 s[12:13], s[0:1]
	s_load_dword s0, s[0:1], 0x8
	s_add_u32 s4, s12, 8
	s_addc_u32 s5, s13, 0
	v_mov_b32_e32 v1, 0
	s_mov_b32 s29, 0
	s_waitcnt lgkmcnt(0)
	s_mul_i32 s1, s0, s3
	s_add_i32 s28, s1, s2
	s_cmp_lt_u32 s2, s0
	s_cselect_b32 s0, 12, 18
	s_add_u32 s0, s4, s0
	s_addc_u32 s1, s5, 0
	global_load_ushort v2, v1, s[0:1]
	s_getpc_b64 s[0:1]
	s_add_u32 s0, s0, detector@rel32@lo+28
	s_addc_u32 s1, s1, detector@rel32@hi+36
	s_load_dwordx2 s[0:1], s[0:1], 0x0
	v_mov_b32_e32 v31, v0
	s_movk_i32 s32, 0x90
	s_waitcnt lgkmcnt(0)
	s_mul_i32 s8, s1, s0
	s_lshl_b64 s[0:1], s[28:29], 5
	s_getpc_b64 s[2:3]
	s_add_u32 s2, s2, detector_scores_count@rel32@lo+4
	s_addc_u32 s3, s3, detector_scores_count@rel32@hi+12
	s_add_u32 s56, s2, s0
	s_addc_u32 s57, s3, s1
	s_getpc_b64 s[2:3]
	s_add_u32 s2, s2, detector_scores_energy@rel32@lo+4
	s_addc_u32 s3, s3, detector_scores_energy@rel32@hi+12
	s_add_u32 s58, s2, s0
	v_cmp_gt_u32_e32 vcc, s8, v31
	s_addc_u32 s59, s3, s1
	s_and_saveexec_b64 s[0:1], vcc
	s_cbranch_execz .LBB1_9
; %bb.1:
	s_load_dword s9, s[4:5], 0xc
	s_load_dwordx2 s[2:3], s[56:57], 0x0
	s_load_dwordx2 s[6:7], s[58:59], 0x0
	s_mov_b64 s[4:5], 0
	v_mov_b32_e32 v0, v31
	s_waitcnt lgkmcnt(0)
	s_and_b32 s9, s9, 0xffff
.LBB1_2:                                ; =>This Inner Loop Header: Depth=1
	v_lshlrev_b64 v[4:5], 2, v[0:1]
	v_add_u32_e32 v0, s9, v0
	v_cmp_le_u32_e32 vcc, s8, v0
	v_lshl_add_u64 v[6:7], s[2:3], 0, v[4:5]
	v_lshl_add_u64 v[4:5], s[6:7], 0, v[4:5]
	s_or_b64 s[4:5], vcc, s[4:5]
	global_store_dword v[6:7], v1, off
	global_store_dword v[4:5], v1, off
	s_andn2_b64 exec, exec, s[4:5]
	s_cbranch_execnz .LBB1_2
; %bb.3:
	s_or_b64 exec, exec, s[4:5]
	s_load_dwordx2 s[2:3], s[56:57], 0x8
	s_load_dwordx2 s[6:7], s[58:59], 0x8
	s_mov_b64 s[4:5], 0
	v_mov_b32_e32 v1, 0
	v_mov_b32_e32 v0, v31
.LBB1_4:                                ; =>This Inner Loop Header: Depth=1
	v_lshlrev_b64 v[4:5], 2, v[0:1]
	v_add_u32_e32 v0, s9, v0
	v_cmp_le_u32_e32 vcc, s8, v0
	s_waitcnt lgkmcnt(0)
	v_lshl_add_u64 v[6:7], s[2:3], 0, v[4:5]
	v_lshl_add_u64 v[4:5], s[6:7], 0, v[4:5]
	s_or_b64 s[4:5], vcc, s[4:5]
	global_store_dword v[6:7], v1, off
	global_store_dword v[4:5], v1, off
	s_andn2_b64 exec, exec, s[4:5]
	s_cbranch_execnz .LBB1_4
; %bb.5:
	s_or_b64 exec, exec, s[4:5]
	s_load_dwordx2 s[2:3], s[56:57], 0x10
	s_load_dwordx2 s[6:7], s[58:59], 0x10
	s_mov_b64 s[4:5], 0
	v_mov_b32_e32 v1, 0
	v_mov_b32_e32 v0, v31
.LBB1_6:                                ; =>This Inner Loop Header: Depth=1
	v_lshlrev_b64 v[4:5], 2, v[0:1]
	v_add_u32_e32 v0, s9, v0
	v_cmp_le_u32_e32 vcc, s8, v0
	s_waitcnt lgkmcnt(0)
	v_lshl_add_u64 v[6:7], s[2:3], 0, v[4:5]
	v_lshl_add_u64 v[4:5], s[6:7], 0, v[4:5]
	s_or_b64 s[4:5], vcc, s[4:5]
	global_store_dword v[6:7], v1, off
	global_store_dword v[4:5], v1, off
	s_andn2_b64 exec, exec, s[4:5]
	s_cbranch_execnz .LBB1_6
; %bb.7:
	s_or_b64 exec, exec, s[4:5]
	s_load_dwordx2 s[2:3], s[56:57], 0x18
	s_load_dwordx2 s[4:5], s[58:59], 0x18
	s_mov_b64 s[6:7], 0
	v_mov_b32_e32 v1, 0
	v_mov_b32_e32 v0, v31
.LBB1_8:                                ; =>This Inner Loop Header: Depth=1
	v_lshlrev_b64 v[4:5], 2, v[0:1]
	v_add_u32_e32 v0, s9, v0
	v_cmp_le_u32_e32 vcc, s8, v0
	s_waitcnt lgkmcnt(0)
	v_lshl_add_u64 v[6:7], s[2:3], 0, v[4:5]
	v_lshl_add_u64 v[4:5], s[4:5], 0, v[4:5]
	s_or_b64 s[6:7], vcc, s[6:7]
	global_store_dword v[6:7], v1, off
	global_store_dword v[4:5], v1, off
	s_andn2_b64 exec, exec, s[6:7]
	s_cbranch_execnz .LBB1_8
.LBB1_9:
	s_or_b64 exec, exec, s[0:1]
	v_lshrrev_b32_e32 v26, 5, v31
	v_mov_b32_e32 v0, 0x4140
	v_and_b32_e32 v126, 31, v31
	v_mad_u32_u24 v38, v26, 36, v0
	v_cmp_gt_u16_e32 vcc, 9, v126
	s_barrier
	s_and_saveexec_b64 s[0:1], vcc
	s_cbranch_execz .LBB1_11
; %bb.10:
	s_mov_b64 s[2:3], src_shared_base
	v_lshl_add_u32 v0, v126, 2, v38
	v_mov_b32_e32 v1, s3
	v_mov_b32_e32 v3, 0
	flat_store_dword v[0:1], v3 sc0 sc1
	s_waitcnt vmcnt(0)
.LBB1_11:
	s_or_b64 exec, exec, s[0:1]
	v_cmp_eq_u16_e64 s[14:15], 0, v126
	v_lshlrev_b32_e32 v27, 2, v26
	s_and_saveexec_b64 s[0:1], s[14:15]
	s_cbranch_execz .LBB1_13
; %bb.12:
	s_mov_b64 s[2:3], src_shared_base
	v_mov_b32_e32 v3, 0x4480
	v_mov_b32_e32 v8, 0
	v_lshl_add_u32 v6, v26, 3, v3
	v_mov_b32_e32 v7, s3
	v_mov_b32_e32 v9, v8
	v_add_u32_e32 v0, 0x4540, v27
	v_mov_b32_e32 v1, s3
	v_or_b32_e32 v4, 0x4500, v27
	v_mov_b32_e32 v5, s3
	flat_store_dwordx2 v[6:7], v[8:9] sc0 sc1
	s_waitcnt vmcnt(0)
	flat_store_dword v[4:5], v8 sc0 sc1
	s_waitcnt vmcnt(0)
	flat_store_dword v[0:1], v8 sc0 sc1
	s_waitcnt vmcnt(0)
.LBB1_13:
	s_or_b64 exec, exec, s[0:1]
	v_lshl_add_u32 v40, s28, 4, v26
	s_and_saveexec_b64 s[0:1], s[14:15]
	s_cbranch_execz .LBB1_15
; %bb.14:
	s_getpc_b64 s[4:5]
	s_add_u32 s4, s4, MT_params@rel32@lo+4
	s_addc_u32 s5, s5, MT_params@rel32@hi+12
	s_load_dwordx2 s[4:5], s[4:5], 0x0
	v_mov_b32_e32 v41, 0
	s_mov_b64 s[2:3], src_shared_base
	v_lshlrev_b32_e32 v3, 4, v26
	v_add_u32_e32 v8, 0x4380, v3
	s_waitcnt lgkmcnt(0)
	v_lshl_add_u64 v[0:1], v[40:41], 4, s[4:5]
	global_load_dwordx4 v[4:7], v[0:1], off
	v_or_b32_e32 v0, 0x4580, v26
	v_mov_b32_e32 v1, s3
	v_add_u32_e32 v3, 0x4388, v3
	s_waitcnt vmcnt(0)
	ds_write2_b32 v3, v6, v7 offset1:1
	ds_write2_b32 v8, v4, v5 offset1:1
	flat_store_byte v[0:1], v41 sc0 sc1
	s_waitcnt vmcnt(0)
.LBB1_15:
	s_or_b64 exec, exec, s[0:1]
	s_getpc_b64 s[0:1]
	s_add_u32 s0, s0, MT_statuses@rel32@lo+4
	s_addc_u32 s1, s1, MT_statuses@rel32@hi+12
	s_load_dwordx2 s[34:35], s[0:1], 0x0
	v_lshlrev_b32_e32 v28, 2, v126
	s_movk_i32 s0, 0x194
	v_mad_u32_u24 v72, v26, s0, v28
	v_lshlrev_b32_e32 v3, 7, v40
	s_mov_b64 s[0:1], 0
	v_mov_b32_e32 v1, 0
	s_movk_i32 s2, 0x44
	v_mov_b32_e32 v4, v72
	v_mov_b32_e32 v5, v126
.LBB1_16:                               ; =>This Inner Loop Header: Depth=1
	v_add_u32_e32 v0, v3, v5
	s_waitcnt lgkmcnt(0)
	v_lshl_add_u64 v[6:7], v[0:1], 2, s[34:35]
	global_load_dword v0, v[6:7], off
	v_add_u32_e32 v6, 32, v5
	v_cmp_lt_u32_e32 vcc, s2, v5
	s_or_b64 s[0:1], vcc, s[0:1]
	v_mov_b32_e32 v5, v6
	s_waitcnt vmcnt(0)
	ds_write_b32 v4, v0
	v_add_u32_e32 v4, 0x80, v4
	s_andn2_b64 exec, exec, s[0:1]
	s_cbranch_execnz .LBB1_16
; %bb.17:
	s_or_b64 exec, exec, s[0:1]
	s_mov_b64 s[0:1], src_shared_base
	s_load_dword s0, s[12:13], 0x0
	v_mov_b32_e32 v41, 0
	v_mov_b32_e32 v74, 2
	v_lshlrev_b64 v[0:1], 7, v[40:41]
	v_lshlrev_b32_sdwa v40, v74, v126 dst_sel:DWORD dst_unused:UNUSED_PAD src0_sel:DWORD src1_sel:WORD_0
	s_waitcnt lgkmcnt(0)
	s_bitcmp1_b32 s0, 0
	s_cselect_b64 s[16:17], -1, 0
	s_bitcmp1_b32 s0, 8
	s_cselect_b64 s[60:61], -1, 0
	s_getpc_b64 s[2:3]
	s_add_u32 s2, s2, MT_tables@rel32@lo+4
	s_addc_u32 s3, s3, MT_tables@rel32@hi+12
	s_load_dwordx2 s[2:3], s[2:3], 0x0
	s_add_u32 s8, s12, 8
	v_lshlrev_b32_e32 v73, 7, v26
	s_addc_u32 s9, s13, 0
	v_mov_b32_e32 v39, s1
	s_waitcnt lgkmcnt(0)
	v_lshl_add_u64 v[0:1], s[2:3], 0, v[0:1]
	v_lshl_add_u64 v[0:1], v[0:1], 0, v[40:41]
	global_load_dword v0, v[0:1], off
	v_and_b32_e32 v1, 0xffff, v2
	v_mul_lo_u32 v1, s28, v1
	v_or_b32_e32 v2, v73, v28
	s_getpc_b64 s[0:1]
	s_add_u32 s0, s0, _Z17MT_generate_arrayv@rel32@lo+4
	s_addc_u32 s1, s1, _Z17MT_generate_arrayv@rel32@hi+12
	s_mov_b32 s63, 0
	v_add_u32_e32 v42, 0x3940, v73
	v_add_u32_e32 v22, v1, v31
	s_waitcnt vmcnt(0)
	ds_write_b32 v2, v0 offset:12608
	s_swappc_b64 s[30:31], s[0:1]
	s_getpc_b64 s[0:1]
	s_add_u32 s0, s0, stack@rel32@lo+4
	s_addc_u32 s1, s1, stack@rel32@hi+12
	s_load_dwordx4 s[4:7], s[0:1], 0x0
	v_mov_b32_e32 v23, v41
	v_lshlrev_b64 v[4:5], 4, v[22:23]
	s_getpc_b64 s[2:3]
	s_add_u32 s2, s2, region_data@rel32@lo+4
	s_addc_u32 s3, s3, region_data@rel32@hi+12
	s_load_dwordx2 s[0:1], s[0:1], 0x10
	s_waitcnt lgkmcnt(0)
	v_lshl_add_u64 v[0:1], s[4:5], 0, v[4:5]
	v_lshl_add_u64 v[6:7], s[6:7], 0, v[4:5]
	scratch_store_dwordx2 off, v[0:1], off offset:72 ; 8-byte Folded Spill
	global_load_dwordx4 v[0:3], v[0:1], off
	s_getpc_b64 s[4:5]
	s_add_u32 s4, s4, ge@rel32@lo+4
	s_addc_u32 s5, s5, ge@rel32@hi+12
	global_load_dwordx4 v[22:25], v[6:7], off
	s_getpc_b64 s[6:7]
	s_add_u32 s6, s6, gmfp@rel32@lo+4
	s_addc_u32 s7, s7, gmfp@rel32@hi+12
	s_getpc_b64 s[8:9]
	s_add_u32 s8, s8, cohe@rel32@lo+4
	s_addc_u32 s9, s9, cohe@rel32@hi+12
	s_getpc_b64 s[10:11]
	s_add_u32 s10, s10, phantom@rel32@lo+4
	s_addc_u32 s11, s11, phantom@rel32@hi+12
	scratch_store_dwordx2 off, v[6:7], off offset:80 ; 8-byte Folded Spill
	s_getpc_b64 s[18:19]
	s_add_u32 s18, s18, phantom@rel32@lo+20
	s_addc_u32 s19, s19, phantom@rel32@hi+28
	s_load_dwordx2 s[64:65], s[2:3], 0x0
	s_load_dwordx2 s[66:67], s[4:5], 0x0
	;; [unrolled: 1-line block ×3, first 2 shown]
	s_nop 0
	s_load_dwordx2 s[2:3], s[8:9], 0x0
	s_load_dwordx4 s[20:23], s[10:11], 0x0
	s_load_dwordx4 s[24:27], s[18:19], 0x0
	s_load_dwordx2 s[72:73], s[18:19], 0x10
	v_mul_u32_u24_e32 v6, 0x180, v26
	v_or_b32_e32 v6, v6, v28
	s_waitcnt lgkmcnt(0)
	s_mov_b32 s62, s20
                                        ; implicit-def: $vgpr127 : SGPR spill to VGPR lane
	v_add_u32_e32 v75, 0x1940, v6
	v_lshl_add_u64 v[6:7], s[0:1], 0, v[4:5]
	s_lshl_b64 s[0:1], s[62:63], 2
	v_writelane_b32 v127, s2, 0
	s_add_u32 s74, s24, s0
	s_mov_b32 s62, s21
	v_writelane_b32 v127, s3, 1
	s_addc_u32 s75, s25, s1
	s_add_i32 s0, s20, -1
	v_writelane_b32 v127, s0, 2
	s_lshl_b64 s[0:1], s[62:63], 2
	s_add_u32 s76, s26, s0
	s_addc_u32 s77, s27, s1
	s_cmp_eq_u32 s21, 1
	s_cselect_b64 s[0:1], -1, 0
	v_writelane_b32 v127, s0, 3
	s_cmp_lt_i32 s21, 2
	s_mov_b32 s23, s63
	v_writelane_b32 v127, s1, 4
	s_cselect_b64 s[0:1], -1, 0
	v_writelane_b32 v127, s0, 5
                                        ; kill: killed $sgpr4_sgpr5
                                        ; kill: killed $sgpr6_sgpr7
                                        ; kill: killed $sgpr8_sgpr9
	v_add_u32_e32 v44, 0x4540, v27
	v_or_b32_e32 v46, 0x4580, v26
	v_writelane_b32 v127, s1, 6
	s_lshl_b64 s[0:1], s[22:23], 2
	s_add_u32 s82, s72, s0
	s_addc_u32 s83, s73, s1
	s_cmp_eq_u32 s22, 1
	s_cselect_b64 s[0:1], -1, 0
	v_writelane_b32 v127, s0, 7
	s_cmp_lt_i32 s22, 2
	v_or_b32_e32 v50, 0x4500, v27
	v_writelane_b32 v127, s1, 8
	s_cselect_b64 s[0:1], -1, 0
	v_writelane_b32 v127, s0, 9
	v_add_u32_e32 v52, v42, v28
	s_mul_i32 s33, s21, s20
	v_writelane_b32 v127, s1, 10
	s_add_i32 s0, s21, -1
	s_cmp_eq_u32 s20, 1
	v_writelane_b32 v127, s0, 11
	s_cselect_b64 s[0:1], -1, 0
	v_writelane_b32 v127, s0, 12
	s_cmp_lt_i32 s20, 2
	v_mov_b32_e32 v45, v39
	v_writelane_b32 v127, s1, 13
	s_cselect_b64 s[0:1], -1, 0
	v_writelane_b32 v127, s0, 14
	v_mov_b32_e32 v47, v39
	v_add_u32_e32 v48, 8, v38
	v_writelane_b32 v127, s1, 15
	s_add_i32 s0, s22, -1
	v_writelane_b32 v127, s0, 16
	s_getpc_b64 s[0:1]
	s_add_u32 s0, s0, gbr1@rel32@lo+4
	s_addc_u32 s1, s1, gbr1@rel32@hi+12
	s_getpc_b64 s[2:3]
	s_add_u32 s2, s2, gbr2@rel32@lo+4
	s_addc_u32 s3, s3, gbr2@rel32@hi+12
	s_getpc_b64 s[4:5]
	s_add_u32 s4, s4, source@rel32@lo+4
	s_addc_u32 s5, s5, source@rel32@hi+12
	s_getpc_b64 s[6:7]
	s_add_u32 s6, s6, source@rel32@lo+12
	s_addc_u32 s7, s7, source@rel32@hi+20
	;; [unrolled: 3-line block ×4, first 2 shown]
	s_load_dwordx2 s[92:93], s[0:1], 0x0
	s_load_dwordx2 s[94:95], s[2:3], 0x0
	s_nop 0
	s_load_dword s0, s[4:5], 0x0
	s_load_dwordx2 s[2:3], s[6:7], 0x10
	s_load_dwordx4 s[36:39], s[8:9], 0x0
	s_load_dwordx4 s[40:43], s[6:7], 0x0
	s_load_dwordx2 s[98:99], s[8:9], 0x10
	s_load_dwordx4 s[44:47], s[10:11], 0x0
	v_mov_b32_e32 v49, v39
	s_waitcnt lgkmcnt(0)
	v_mov_b32_e32 v4, s38
	v_cvt_f32_u32_e32 v77, s0
	v_writelane_b32 v127, s2, 17
	s_getpc_b64 s[0:1]
	s_add_u32 s0, s0, detector@rel32@lo+4
	s_addc_u32 s1, s1, detector@rel32@hi+12
	s_waitcnt vmcnt(2)
	v_lshrrev_b32_e32 v83, 8, v0
	v_lshrrev_b32_e32 v76, 16, v0
	s_waitcnt vmcnt(1)
	v_mov_b32_e32 v54, v23
	v_cndmask_b32_e64 v23, v0, 7, s[16:17]
	v_mov_b32_e32 v0, 0x4480
	v_lshl_add_u32 v56, v26, 3, v0
	global_load_dwordx3 v[26:28], v[6:7], off
	v_writelane_b32 v127, s3, 18
	s_getpc_b64 s[2:3]
	s_add_u32 s2, s2, detector@rel32@lo+20
	s_addc_u32 s3, s3, detector@rel32@hi+28
	s_load_dwordx4 s[4:7], s[0:1], 0x0
	s_load_dwordx4 s[52:55], s[2:3], 0x0
	v_mov_b32_e32 v68, v1
	s_getpc_b64 s[0:1]
	s_add_u32 s0, s0, pmax@rel32@lo+4
	s_addc_u32 s1, s1, pmax@rel32@hi+12
	s_load_dwordx2 s[0:1], s[0:1], 0x0
	s_waitcnt lgkmcnt(0)
	v_writelane_b32 v127, s4, 19
	v_cvt_f32_u32_e32 v0, s54
	v_cvt_f32_u32_e32 v1, s55
	v_writelane_b32 v127, s5, 20
	v_writelane_b32 v127, s6, 21
	v_mul_f32_e32 v0, 0.5, v0
	scratch_store_dword off, v0, off offset:96 ; 4-byte Folded Spill
	v_mul_f32_e32 v0, 0.5, v1
	scratch_store_dword off, v0, off offset:100 ; 4-byte Folded Spill
	v_add_u32_e32 v0, 4, v38
	v_mov_b32_e32 v1, v39
	scratch_store_dwordx2 off, v[0:1], off offset:56 ; 8-byte Folded Spill
	v_add_u32_e32 v0, 16, v38
	scratch_store_dwordx2 off, v[0:1], off offset:64 ; 8-byte Folded Spill
	v_add_u32_e32 v0, 20, v38
	;; [unrolled: 2-line block ×5, first 2 shown]
	scratch_store_dwordx2 off, v[0:1], off  ; 8-byte Folded Spill
	v_add_u32_e32 v0, 0x3948, v73
	scratch_store_dwordx2 off, v[0:1], off offset:8 ; 8-byte Folded Spill
	v_add_u32_e32 v0, 0x394c, v73
	scratch_store_dwordx2 off, v[0:1], off offset:16 ; 8-byte Folded Spill
	;; [unrolled: 2-line block ×5, first 2 shown]
	v_cvt_f32_u32_e32 v0, s33
	v_cvt_f32_u32_e32 v1, s20
	v_writelane_b32 v127, s7, 22
	v_writelane_b32 v127, s0, 23
	v_rcp_iflag_f32_e32 v0, v0
	v_rcp_iflag_f32_e32 v1, v1
	v_writelane_b32 v127, s1, 24
	s_getpc_b64 s[0:1]
	s_add_u32 s0, s0, i_array@rel32@lo+4
	s_addc_u32 s1, s1, i_array@rel32@hi+12
	v_mul_f32_e32 v0, 0x4f7ffffe, v0
	v_cvt_u32_f32_e32 v0, v0
	s_load_dwordx2 s[84:85], s[0:1], 0x0
	s_getpc_b64 s[0:1]
	s_add_u32 s0, s0, rayleigh_data@rel32@lo+4
	s_addc_u32 s1, s1, rayleigh_data@rel32@hi+12
	v_mul_f32_e32 v1, 0x4f7ffffe, v1
	s_load_dwordx2 s[86:87], s[0:1], 0x0
	s_sub_i32 s0, 0, s33
	v_cvt_u32_f32_e32 v1, v1
	v_mov_b32_e32 v69, v2
	v_mul_lo_u32 v2, s0, v0
	v_mul_hi_u32 v2, v0, v2
	v_add_u32_e32 v0, v0, v2
	s_sub_i32 s0, 0, s20
	scratch_store_dword off, v0, off offset:48 ; 4-byte Folded Spill
	v_mul_lo_u32 v0, s0, v1
	v_mul_hi_u32 v0, v1, v0
	s_waitcnt lgkmcnt(0)
	s_add_u32 s88, s86, 20
	v_mov_b32_e32 v51, v39
	v_mov_b32_e32 v53, v39
	;; [unrolled: 1-line block ×3, first 2 shown]
	v_sub_f32_e32 v78, s39, v4
	v_mov_b32_e32 v57, v39
	v_add_u32_e32 v58, 28, v38
	v_mov_b32_e32 v59, v39
	v_mov_b32_e32 v43, v39
	v_add_u32_e32 v84, 0x395c, v73
	v_mov_b32_e32 v85, v39
	v_add_u32_e32 v86, 0x3960, v73
	;; [unrolled: 2-line block ×26, first 2 shown]
	s_addc_u32 s89, s87, 0
	s_mov_b32 s39, 0x800000
	s_mov_b32 s47, 0x3f317217
	;; [unrolled: 1-line block ×3, first 2 shown]
	s_movk_i32 s62, 0xc8
	s_mov_b32 s23, 0xf800000
	v_mov_b32_e32 v79, 0x260
	s_mov_b32 s96, 0x3f02d11e
	s_mov_b32 s97, 0x3fb8aa3b
	;; [unrolled: 1-line block ×5, first 2 shown]
	v_mov_b32_e32 v70, v3
	v_mov_b32_e32 v80, 0x41b17218
	;; [unrolled: 1-line block ×3, first 2 shown]
	s_waitcnt vmcnt(14)
	v_mov_b32_e32 v64, v28
	scratch_store_dword off, v0, off offset:52 ; 4-byte Folded Spill
	scratch_store_dwordx2 off, v[6:7], off offset:88 ; 8-byte Folded Spill
	s_branch .LBB1_19
.LBB1_18:                               ;   in Loop: Header=BB1_19 Depth=1
	s_andn2_b64 vcc, exec, s[0:1]
	s_cbranch_vccz .LBB1_383
.LBB1_19:                               ; =>This Loop Header: Depth=1
                                        ;     Child Loop BB1_80 Depth 2
                                        ;     Child Loop BB1_87 Depth 2
	;; [unrolled: 1-line block ×8, first 2 shown]
                                        ;       Child Loop BB1_315 Depth 3
                                        ;         Child Loop BB1_324 Depth 4
	s_and_saveexec_b64 s[0:1], s[14:15]
	s_cbranch_execz .LBB1_21
; %bb.20:                               ;   in Loop: Header=BB1_19 Depth=1
	flat_load_dword v0, v[44:45] sc0 sc1
	s_waitcnt vmcnt(0) lgkmcnt(0)
	v_add_u32_e32 v0, 1, v0
	flat_store_dword v[44:45], v0 sc0 sc1
	s_waitcnt vmcnt(0)
.LBB1_21:                               ;   in Loop: Header=BB1_19 Depth=1
	s_or_b64 exec, exec, s[0:1]
	v_mov_b32_e32 v0, 8
	v_cmp_ne_u16_sdwa s[0:1], v23, v0 src0_sel:BYTE_0 src1_sel:DWORD
	s_or_b64 vcc, s[60:61], s[0:1]
	v_cndmask_b32_e32 v23, 7, v23, vcc
	v_cmp_eq_u16_sdwa s[16:17], v23, v74 src0_sel:BYTE_0 src1_sel:DWORD
	s_mov_b64 vcc, s[16:17]
	s_cbranch_vccz .LBB1_175
; %bb.22:                               ;   in Loop: Header=BB1_19 Depth=1
	v_mov_b32_e32 v71, v41
	v_lshl_add_u64 v[0:1], v[70:71], 4, s[64:65]
	global_load_dwordx3 v[28:30], v[0:1], off
	s_waitcnt vmcnt(0)
	v_mov_b32_e32 v63, v30
	v_mov_b32_e32 v62, v29
	s_and_saveexec_b64 s[0:1], s[16:17]
	s_cbranch_execz .LBB1_28
; %bb.23:                               ;   in Loop: Header=BB1_19 Depth=1
	v_cmp_nle_f32_e32 vcc, v68, v63
	v_mov_b32_e32 v23, 0
	s_and_saveexec_b64 s[2:3], vcc
	s_cbranch_execz .LBB1_27
; %bb.24:                               ;   in Loop: Header=BB1_19 Depth=1
	v_cmp_ge_f32_e32 vcc, 0, v69
	v_mov_b32_e32 v23, 2
	s_and_saveexec_b64 s[4:5], vcc
; %bb.25:                               ;   in Loop: Header=BB1_19 Depth=1
	v_mov_b32_e32 v23, 1
; %bb.26:                               ;   in Loop: Header=BB1_19 Depth=1
	s_or_b64 exec, exec, s[4:5]
.LBB1_27:                               ;   in Loop: Header=BB1_19 Depth=1
	s_or_b64 exec, exec, s[2:3]
.LBB1_28:                               ;   in Loop: Header=BB1_19 Depth=1
	s_or_b64 exec, exec, s[0:1]
	flat_load_ubyte v0, v[46:47] sc0 sc1
	s_waitcnt vmcnt(0) lgkmcnt(0)
	v_cmp_lt_u32_e32 vcc, 1, v0
	v_add_u32_e32 v0, 1, v0
	s_and_saveexec_b64 s[18:19], vcc
	s_cbranch_execz .LBB1_30
; %bb.29:                               ;   in Loop: Header=BB1_19 Depth=1
	s_add_u32 s8, s12, 8
	s_addc_u32 s9, s13, 0
	s_getpc_b64 s[0:1]
	s_add_u32 s0, s0, _Z17MT_generate_arrayv@rel32@lo+4
	s_addc_u32 s1, s1, _Z17MT_generate_arrayv@rel32@hi+12
	s_swappc_b64 s[30:31], s[0:1]
	v_mov_b32_e32 v0, 0
.LBB1_30:                               ;   in Loop: Header=BB1_19 Depth=1
	s_or_b64 exec, exec, s[18:19]
	s_and_saveexec_b64 s[0:1], s[14:15]
	s_cbranch_execz .LBB1_32
; %bb.31:                               ;   in Loop: Header=BB1_19 Depth=1
	flat_store_byte v[46:47], v0 sc0 sc1
	s_waitcnt vmcnt(0)
.LBB1_32:                               ;   in Loop: Header=BB1_19 Depth=1
	s_or_b64 exec, exec, s[0:1]
	v_lshl_add_u32 v0, v0, 7, v75
	ds_read_b32 v0, v0
	v_lshrrev_b32_e32 v24, 16, v28
	v_mov_b32_e32 v29, 0
	v_mov_b32_e32 v40, v28
	v_mov_b32_e32 v60, 0
	s_waitcnt lgkmcnt(0)
	v_cmp_gt_f32_e32 vcc, s39, v0
	s_nop 1
	v_cndmask_b32_e64 v1, 0, 32, vcc
	v_ldexp_f32 v0, v0, v1
	v_log_f32_e32 v0, v0
	s_nop 0
	v_mul_f32_e32 v1, 0x3f317217, v0
	v_fma_f32 v1, v0, s47, -v1
	v_fmac_f32_e32 v1, 0x3377d1cf, v0
	v_fmac_f32_e32 v1, 0x3f317217, v0
	v_cmp_lt_f32_e64 s[0:1], |v0|, s51
	s_nop 1
	v_cndmask_b32_e64 v0, v0, v1, s[0:1]
	v_cndmask_b32_e32 v1, 0, v80, vcc
	v_cmp_gt_f32_e32 vcc, s39, v68
	v_sub_f32_e32 v3, v0, v1
	v_xor_b32_e32 v10, 0x80000000, v3
	v_cndmask_b32_e64 v0, 0, 32, vcc
	v_ldexp_f32 v0, v68, v0
	v_log_f32_e32 v0, v0
	s_nop 0
	v_mul_f32_e32 v1, 0x3f317217, v0
	v_fma_f32 v1, v0, s47, -v1
	v_fmac_f32_e32 v1, 0x3377d1cf, v0
	v_fmac_f32_e32 v1, 0x3f317217, v0
	v_cmp_lt_f32_e64 s[0:1], |v0|, s51
	s_nop 1
	v_cndmask_b32_e64 v0, v0, v1, s[0:1]
	v_cndmask_b32_e32 v1, 0, v80, vcc
	v_cmp_eq_u16_sdwa s[0:1], v23, v74 src0_sel:BYTE_0 src1_sel:DWORD
	v_sub_f32_e32 v30, v0, v1
	s_and_b64 s[0:1], s[16:17], s[0:1]
	s_and_saveexec_b64 s[6:7], s[0:1]
	s_cbranch_execz .LBB1_158
; %bb.33:                               ;   in Loop: Header=BB1_19 Depth=1
	v_cmp_eq_u16_e64 s[0:1], -1, v28
	v_cmp_ne_u16_e64 s[2:3], -1, v28
	v_mov_b32_e32 v0, 0x4cbebc20
	v_mov_b32_e32 v11, 0
	;; [unrolled: 1-line block ×4, first 2 shown]
	s_and_saveexec_b64 s[4:5], s[2:3]
	s_cbranch_execz .LBB1_37
; %bb.34:                               ;   in Loop: Header=BB1_19 Depth=1
	v_and_b32_e32 v2, 0xffff, v28
	v_lshlrev_b32_e32 v0, 3, v2
	global_load_dwordx2 v[0:1], v0, s[66:67]
	v_mov_b32_e32 v60, 0
	s_waitcnt vmcnt(0)
	v_fmac_f32_e32 v0, v30, v1
	v_cvt_i32_f32_e32 v29, v0
	v_mad_u32_u24 v0, v2, s62, v29
	v_ashrrev_i32_e32 v1, 31, v0
	v_lshl_add_u64 v[4:5], v[0:1], 3, s[68:69]
	global_load_dwordx2 v[4:5], v[4:5], off
	s_waitcnt vmcnt(0)
	v_fmac_f32_e32 v4, v30, v5
	v_div_scale_f32 v2, s[8:9], v62, v62, v4
	v_rcp_f32_e32 v5, v2
	s_nop 0
	v_fma_f32 v6, -v2, v5, 1.0
	v_fmac_f32_e32 v5, v6, v5
	v_div_scale_f32 v6, vcc, v4, v62, v4
	v_mul_f32_e32 v7, v6, v5
	v_fma_f32 v8, -v2, v7, v6
	v_fmac_f32_e32 v7, v8, v5
	v_fma_f32 v2, -v2, v7, v6
	v_div_fmas_f32 v2, v2, v5, v7
	v_div_fixup_f32 v11, v2, v62, v4
	v_and_b32_e32 v2, 1, v24
	v_cmp_eq_u32_e32 vcc, 1, v2
	s_and_saveexec_b64 s[8:9], vcc
	s_cbranch_execz .LBB1_36
; %bb.35:                               ;   in Loop: Header=BB1_19 Depth=1
	v_readlane_b32 s10, v127, 0
	v_readlane_b32 s11, v127, 1
	s_nop 1
	v_lshl_add_u64 v[0:1], v[0:1], 3, s[10:11]
	global_load_dwordx2 v[60:61], v[0:1], off
	s_waitcnt vmcnt(0)
	v_fmac_f32_e32 v60, v30, v61
	v_mul_f32_e32 v11, v11, v60
.LBB1_36:                               ;   in Loop: Header=BB1_19 Depth=1
	s_or_b64 exec, exec, s[8:9]
	v_mul_f32_e64 v0, v11, -v3
.LBB1_37:                               ;   in Loop: Header=BB1_19 Depth=1
	s_or_b64 exec, exec, s[4:5]
	v_cmp_ne_u32_e32 vcc, 0, v70
                                        ; implicit-def: $vgpr2
	s_and_saveexec_b64 s[4:5], vcc
	s_xor_b64 s[4:5], exec, s[4:5]
	s_cbranch_execz .LBB1_69
; %bb.38:                               ;   in Loop: Header=BB1_19 Depth=1
	scratch_load_dword v2, off, off offset:48 ; 4-byte Folded Reload
	v_add_u32_e32 v1, -1, v70
	s_waitcnt vmcnt(0)
	v_mul_hi_u32 v2, v1, v2
	v_mul_lo_u32 v4, v2, s33
	v_sub_u32_e32 v4, v1, v4
	v_add_u32_e32 v5, 1, v2
	v_cmp_le_u32_e32 vcc, s33, v4
	s_nop 1
	v_cndmask_b32_e32 v2, v2, v5, vcc
	v_subrev_u32_e32 v5, s33, v4
	v_cndmask_b32_e32 v4, v4, v5, vcc
	v_add_u32_e32 v5, 1, v2
	v_cmp_le_u32_e32 vcc, s33, v4
	s_nop 1
	v_cndmask_b32_e32 v4, v2, v5, vcc
	scratch_load_dword v5, off, off offset:52 ; 4-byte Folded Reload
	v_mul_lo_u32 v2, s33, v4
	v_sub_u32_e32 v2, v1, v2
	s_waitcnt vmcnt(0)
	v_mul_hi_u32 v5, v2, v5
	v_mul_lo_u32 v6, v5, s20
	v_sub_u32_e32 v6, v2, v6
	v_add_u32_e32 v7, 1, v5
	v_cmp_le_u32_e32 vcc, s20, v6
	s_nop 1
	v_cndmask_b32_e32 v5, v5, v7, vcc
	v_subrev_u32_e32 v7, s20, v6
	v_cndmask_b32_e32 v6, v6, v7, vcc
	v_add_u32_e32 v7, 1, v5
	v_cmp_le_u32_e32 vcc, s20, v6
	s_nop 1
	v_cndmask_b32_e32 v6, v5, v7, vcc
	v_mul_lo_u32 v5, v6, s20
	v_sub_u32_e32 v8, v2, v5
	v_cmp_nlt_f32_e32 vcc, 0, v26
                                        ; implicit-def: $vgpr2
	s_and_saveexec_b64 s[8:9], vcc
	s_xor_b64 s[8:9], exec, s[8:9]
	s_cbranch_execz .LBB1_44
; %bb.39:                               ;   in Loop: Header=BB1_19 Depth=1
	v_cmp_gt_f32_e32 vcc, 0, v26
	v_mov_b32_e32 v2, v70
	s_and_saveexec_b64 s[10:11], vcc
	s_cbranch_execz .LBB1_43
; %bb.40:                               ;   in Loop: Header=BB1_19 Depth=1
	v_ashrrev_i32_e32 v9, 31, v8
	v_lshl_add_u64 v[12:13], v[8:9], 2, s[24:25]
	global_load_dword v2, v[12:13], off
	s_waitcnt vmcnt(0)
	v_sub_f32_e32 v2, v2, v54
	v_div_scale_f32 v5, s[18:19], v26, v26, v2
	v_rcp_f32_e32 v7, v5
	v_div_scale_f32 v9, vcc, v2, v26, v2
	v_fma_f32 v12, -v5, v7, 1.0
	v_fmac_f32_e32 v7, v12, v7
	v_mul_f32_e32 v12, v9, v7
	v_fma_f32 v13, -v5, v12, v9
	v_fmac_f32_e32 v12, v13, v7
	v_fma_f32 v5, -v5, v12, v9
	v_div_fmas_f32 v5, v5, v7, v12
	v_div_fixup_f32 v5, v5, v26, v2
	v_cmp_le_f32_e32 vcc, v5, v0
	v_mov_b32_e32 v2, v70
	s_and_saveexec_b64 s[18:19], vcc
; %bb.41:                               ;   in Loop: Header=BB1_19 Depth=1
	v_cmp_lt_i32_e32 vcc, 0, v8
	v_mov_b32_e32 v0, v5
	s_nop 0
	v_cndmask_b32_e32 v2, 0, v1, vcc
; %bb.42:                               ;   in Loop: Header=BB1_19 Depth=1
	s_or_b64 exec, exec, s[18:19]
.LBB1_43:                               ;   in Loop: Header=BB1_19 Depth=1
	s_or_b64 exec, exec, s[10:11]
                                        ; implicit-def: $vgpr8
.LBB1_44:                               ;   in Loop: Header=BB1_19 Depth=1
	s_andn2_saveexec_b64 s[8:9], s[8:9]
	s_cbranch_execz .LBB1_48
; %bb.45:                               ;   in Loop: Header=BB1_19 Depth=1
	v_ashrrev_i32_e32 v9, 31, v8
	v_lshl_add_u64 v[12:13], v[8:9], 2, s[24:25]
	global_load_dword v1, v[12:13], off offset:4
	s_waitcnt vmcnt(0)
	v_sub_f32_e32 v1, v1, v54
	v_div_scale_f32 v2, s[10:11], v26, v26, v1
	v_rcp_f32_e32 v5, v2
	v_div_scale_f32 v7, vcc, v1, v26, v1
	v_fma_f32 v9, -v2, v5, 1.0
	v_fmac_f32_e32 v5, v9, v5
	v_mul_f32_e32 v9, v7, v5
	v_fma_f32 v12, -v2, v9, v7
	v_fmac_f32_e32 v9, v12, v5
	v_fma_f32 v2, -v2, v9, v7
	v_div_fmas_f32 v2, v2, v5, v9
	v_div_fixup_f32 v1, v2, v26, v1
	v_cmp_le_f32_e32 vcc, v1, v0
	v_mov_b32_e32 v2, v70
	s_and_saveexec_b64 s[10:11], vcc
; %bb.46:                               ;   in Loop: Header=BB1_19 Depth=1
	v_add_u32_e32 v0, 1, v8
	v_add_u32_e32 v2, 1, v70
	v_cmp_gt_u32_e32 vcc, s20, v0
	v_mov_b32_e32 v0, v1
	s_nop 0
	v_cndmask_b32_e32 v2, 0, v2, vcc
; %bb.47:                               ;   in Loop: Header=BB1_19 Depth=1
	s_or_b64 exec, exec, s[10:11]
.LBB1_48:                               ;   in Loop: Header=BB1_19 Depth=1
	s_or_b64 exec, exec, s[8:9]
	v_cmp_nlt_f32_e32 vcc, 0, v27
	s_and_saveexec_b64 s[8:9], vcc
	s_xor_b64 s[8:9], exec, s[8:9]
	s_cbranch_execz .LBB1_54
; %bb.49:                               ;   in Loop: Header=BB1_19 Depth=1
	v_cmp_gt_f32_e32 vcc, 0, v27
	s_and_saveexec_b64 s[10:11], vcc
	s_cbranch_execz .LBB1_53
; %bb.50:                               ;   in Loop: Header=BB1_19 Depth=1
	v_ashrrev_i32_e32 v7, 31, v6
	v_lshl_add_u64 v[8:9], v[6:7], 2, s[26:27]
	global_load_dword v1, v[8:9], off
	s_waitcnt vmcnt(0)
	v_sub_f32_e32 v1, v1, v55
	v_div_scale_f32 v5, s[18:19], v27, v27, v1
	v_rcp_f32_e32 v7, v5
	v_div_scale_f32 v8, vcc, v1, v27, v1
	v_fma_f32 v9, -v5, v7, 1.0
	v_fmac_f32_e32 v7, v9, v7
	v_mul_f32_e32 v9, v8, v7
	v_fma_f32 v12, -v5, v9, v8
	v_fmac_f32_e32 v9, v12, v7
	v_fma_f32 v5, -v5, v9, v8
	v_div_fmas_f32 v5, v5, v7, v9
	v_div_fixup_f32 v1, v5, v27, v1
	v_cmp_le_f32_e32 vcc, v1, v0
	s_and_saveexec_b64 s[18:19], vcc
; %bb.51:                               ;   in Loop: Header=BB1_19 Depth=1
	v_subrev_u32_e32 v0, s20, v70
	v_cmp_lt_i32_e32 vcc, 0, v6
	s_nop 1
	v_cndmask_b32_e32 v2, 0, v0, vcc
	v_mov_b32_e32 v0, v1
; %bb.52:                               ;   in Loop: Header=BB1_19 Depth=1
	s_or_b64 exec, exec, s[18:19]
.LBB1_53:                               ;   in Loop: Header=BB1_19 Depth=1
	s_or_b64 exec, exec, s[10:11]
                                        ; implicit-def: $vgpr6
.LBB1_54:                               ;   in Loop: Header=BB1_19 Depth=1
	s_andn2_saveexec_b64 s[8:9], s[8:9]
	s_cbranch_execz .LBB1_58
; %bb.55:                               ;   in Loop: Header=BB1_19 Depth=1
	v_ashrrev_i32_e32 v7, 31, v6
	v_lshl_add_u64 v[8:9], v[6:7], 2, s[26:27]
	global_load_dword v1, v[8:9], off offset:4
	s_waitcnt vmcnt(0)
	v_sub_f32_e32 v1, v1, v55
	v_div_scale_f32 v5, s[10:11], v27, v27, v1
	v_rcp_f32_e32 v7, v5
	v_div_scale_f32 v8, vcc, v1, v27, v1
	v_fma_f32 v9, -v5, v7, 1.0
	v_fmac_f32_e32 v7, v9, v7
	v_mul_f32_e32 v9, v8, v7
	v_fma_f32 v12, -v5, v9, v8
	v_fmac_f32_e32 v9, v12, v7
	v_fma_f32 v5, -v5, v9, v8
	v_div_fmas_f32 v5, v5, v7, v9
	v_div_fixup_f32 v1, v5, v27, v1
	v_cmp_le_f32_e32 vcc, v1, v0
	s_and_saveexec_b64 s[10:11], vcc
; %bb.56:                               ;   in Loop: Header=BB1_19 Depth=1
	v_add_u32_e32 v0, 1, v6
	v_add_u32_e32 v2, s20, v70
	v_cmp_gt_u32_e32 vcc, s21, v0
	v_mov_b32_e32 v0, v1
	s_nop 0
	v_cndmask_b32_e32 v2, 0, v2, vcc
; %bb.57:                               ;   in Loop: Header=BB1_19 Depth=1
	s_or_b64 exec, exec, s[10:11]
.LBB1_58:                               ;   in Loop: Header=BB1_19 Depth=1
	s_or_b64 exec, exec, s[8:9]
	v_cmp_nlt_f32_e32 vcc, 0, v64
	s_and_saveexec_b64 s[8:9], vcc
	s_xor_b64 s[8:9], exec, s[8:9]
	s_cbranch_execz .LBB1_64
; %bb.59:                               ;   in Loop: Header=BB1_19 Depth=1
	v_cmp_gt_f32_e32 vcc, 0, v64
	s_and_saveexec_b64 s[10:11], vcc
	s_cbranch_execz .LBB1_63
; %bb.60:                               ;   in Loop: Header=BB1_19 Depth=1
	v_ashrrev_i32_e32 v5, 31, v4
	v_lshl_add_u64 v[6:7], v[4:5], 2, s[72:73]
	global_load_dword v1, v[6:7], off
	s_waitcnt vmcnt(0)
	v_sub_f32_e32 v1, v1, v25
	v_div_scale_f32 v5, s[18:19], v64, v64, v1
	v_rcp_f32_e32 v6, v5
	v_div_scale_f32 v7, vcc, v1, v64, v1
	v_fma_f32 v8, -v5, v6, 1.0
	v_fmac_f32_e32 v6, v8, v6
	v_mul_f32_e32 v8, v7, v6
	v_fma_f32 v9, -v5, v8, v7
	v_fmac_f32_e32 v8, v9, v6
	v_fma_f32 v5, -v5, v8, v7
	v_div_fmas_f32 v5, v5, v6, v8
	v_div_fixup_f32 v1, v5, v64, v1
	v_cmp_le_f32_e32 vcc, v1, v0
	s_and_saveexec_b64 s[18:19], vcc
; %bb.61:                               ;   in Loop: Header=BB1_19 Depth=1
	v_subrev_u32_e32 v0, s33, v70
	v_cmp_lt_i32_e32 vcc, 0, v4
	s_nop 1
	v_cndmask_b32_e32 v2, 0, v0, vcc
	v_mov_b32_e32 v0, v1
; %bb.62:                               ;   in Loop: Header=BB1_19 Depth=1
	s_or_b64 exec, exec, s[18:19]
.LBB1_63:                               ;   in Loop: Header=BB1_19 Depth=1
	s_or_b64 exec, exec, s[10:11]
                                        ; implicit-def: $vgpr4
.LBB1_64:                               ;   in Loop: Header=BB1_19 Depth=1
	s_andn2_saveexec_b64 s[8:9], s[8:9]
	s_cbranch_execz .LBB1_68
; %bb.65:                               ;   in Loop: Header=BB1_19 Depth=1
	v_ashrrev_i32_e32 v5, 31, v4
	v_lshl_add_u64 v[6:7], v[4:5], 2, s[72:73]
	global_load_dword v1, v[6:7], off offset:4
	s_waitcnt vmcnt(0)
	v_sub_f32_e32 v1, v1, v25
	v_div_scale_f32 v5, s[10:11], v64, v64, v1
	v_rcp_f32_e32 v6, v5
	v_div_scale_f32 v7, vcc, v1, v64, v1
	v_fma_f32 v8, -v5, v6, 1.0
	v_fmac_f32_e32 v6, v8, v6
	v_mul_f32_e32 v8, v7, v6
	v_fma_f32 v9, -v5, v8, v7
	v_fmac_f32_e32 v8, v9, v6
	v_fma_f32 v5, -v5, v8, v7
	v_div_fmas_f32 v5, v5, v6, v8
	v_div_fixup_f32 v1, v5, v64, v1
	v_cmp_le_f32_e32 vcc, v1, v0
	s_and_saveexec_b64 s[10:11], vcc
; %bb.66:                               ;   in Loop: Header=BB1_19 Depth=1
	v_add_u32_e32 v0, 1, v4
	v_add_u32_e32 v2, s33, v70
	v_cmp_gt_u32_e32 vcc, s22, v0
	v_mov_b32_e32 v0, v1
	s_nop 0
	v_cndmask_b32_e32 v2, 0, v2, vcc
; %bb.67:                               ;   in Loop: Header=BB1_19 Depth=1
	s_or_b64 exec, exec, s[10:11]
.LBB1_68:                               ;   in Loop: Header=BB1_19 Depth=1
	s_or_b64 exec, exec, s[8:9]
.LBB1_69:                               ;   in Loop: Header=BB1_19 Depth=1
	s_andn2_saveexec_b64 s[8:9], s[4:5]
	s_cbranch_execz .LBB1_149
; %bb.70:                               ;   in Loop: Header=BB1_19 Depth=1
	global_load_dword v5, v41, s[24:25]
	v_cmp_nlt_f32_e64 s[4:5], 0, v26
                                        ; implicit-def: $vgpr8
                                        ; implicit-def: $vgpr1
	s_waitcnt vmcnt(0)
	v_cmp_nle_f32_e32 vcc, v54, v5
	s_or_b64 s[4:5], vcc, s[4:5]
	s_and_saveexec_b64 s[10:11], s[4:5]
	s_xor_b64 s[10:11], exec, s[10:11]
	s_cbranch_execz .LBB1_74
; %bb.71:                               ;   in Loop: Header=BB1_19 Depth=1
	global_load_dword v2, v41, s[74:75]
	v_cmp_gt_f32_e32 vcc, 0, v26
	v_mov_b32_e32 v8, -1
                                        ; implicit-def: $vgpr1
	s_waitcnt vmcnt(0)
	v_cmp_ge_f32_e64 s[4:5], v54, v2
	s_and_b64 s[18:19], s[4:5], vcc
	s_and_saveexec_b64 s[4:5], s[18:19]
	s_cbranch_execz .LBB1_73
; %bb.72:                               ;   in Loop: Header=BB1_19 Depth=1
	v_sub_f32_e32 v1, v2, v54
	v_div_scale_f32 v2, s[18:19], v26, v26, v1
	v_rcp_f32_e32 v4, v2
	v_div_scale_f32 v6, vcc, v1, v26, v1
	v_readlane_b32 s18, v127, 2
	v_fma_f32 v7, -v2, v4, 1.0
	v_fmac_f32_e32 v4, v7, v4
	v_mul_f32_e32 v7, v6, v4
	v_fma_f32 v8, -v2, v7, v6
	v_fmac_f32_e32 v7, v8, v4
	v_fma_f32 v2, -v2, v7, v6
	v_div_fmas_f32 v2, v2, v4, v7
	v_div_fixup_f32 v1, v2, v26, v1
	v_mov_b32_e32 v8, s18
.LBB1_73:                               ;   in Loop: Header=BB1_19 Depth=1
	s_or_b64 exec, exec, s[4:5]
.LBB1_74:                               ;   in Loop: Header=BB1_19 Depth=1
	s_andn2_saveexec_b64 s[4:5], s[10:11]
	s_cbranch_execz .LBB1_76
; %bb.75:                               ;   in Loop: Header=BB1_19 Depth=1
	v_sub_f32_e32 v1, v5, v54
	v_div_scale_f32 v2, s[10:11], v26, v26, v1
	v_rcp_f32_e32 v4, v2
	v_div_scale_f32 v6, vcc, v1, v26, v1
	v_fma_f32 v7, -v2, v4, 1.0
	v_fmac_f32_e32 v4, v7, v4
	v_mul_f32_e32 v7, v6, v4
	v_fma_f32 v8, -v2, v7, v6
	v_fmac_f32_e32 v7, v8, v4
	v_fma_f32 v2, -v2, v7, v6
	v_div_fmas_f32 v2, v2, v4, v7
	v_div_fixup_f32 v1, v2, v26, v1
	v_mov_b32_e32 v8, 0
.LBB1_76:                               ;   in Loop: Header=BB1_19 Depth=1
	s_or_b64 exec, exec, s[4:5]
	global_load_dword v6, v41, s[26:27]
	v_cmp_lt_i32_e32 vcc, -1, v8
	v_cmp_le_f32_e64 s[4:5], v1, v0
	s_and_b64 s[4:5], vcc, s[4:5]
	s_mov_b64 s[18:19], 0
	v_mov_b32_e32 v7, v55
                                        ; implicit-def: $vgpr2
	s_and_saveexec_b64 s[10:11], s[4:5]
	s_xor_b64 s[4:5], exec, s[10:11]
	s_cbranch_execz .LBB1_95
; %bb.77:                               ;   in Loop: Header=BB1_19 Depth=1
	v_fma_f32 v2, v27, v1, v55
	s_waitcnt vmcnt(0)
	v_cmp_nlt_f32_e32 vcc, v2, v6
	v_mov_b32_e32 v4, -1
	s_and_saveexec_b64 s[10:11], vcc
	s_cbranch_execz .LBB1_83
; %bb.78:                               ;   in Loop: Header=BB1_19 Depth=1
	global_load_dword v4, v41, s[76:77]
	v_readlane_b32 s18, v127, 11
	s_waitcnt vmcnt(0)
	v_cmp_gt_f32_e32 vcc, v2, v4
	v_mov_b32_e32 v7, s18
	v_readlane_b32 s18, v127, 5
	v_readlane_b32 s19, v127, 6
	s_nor_b64 s[30:31], vcc, s[18:19]
	v_readlane_b32 s18, v127, 3
	v_readlane_b32 s19, v127, 4
	v_cndmask_b32_e64 v4, 0, -1, vcc
	s_or_b64 vcc, vcc, s[18:19]
	v_cndmask_b32_e32 v4, v7, v4, vcc
	s_and_saveexec_b64 s[18:19], s[30:31]
	s_cbranch_execz .LBB1_82
; %bb.79:                               ;   in Loop: Header=BB1_19 Depth=1
	v_mov_b32_e32 v7, 0
	s_mov_b64 s[30:31], 0
	v_mov_b32_e32 v4, s21
.LBB1_80:                               ;   Parent Loop BB1_19 Depth=1
                                        ; =>  This Inner Loop Header: Depth=2
	v_add_u32_e32 v9, v7, v4
	v_lshrrev_b32_e32 v40, 1, v9
	v_lshl_add_u64 v[12:13], v[40:41], 2, s[26:27]
	global_load_dword v9, v[12:13], off
	s_waitcnt vmcnt(0)
	v_cmp_nle_f32_e32 vcc, v2, v9
	s_nop 1
	v_cndmask_b32_e32 v7, v7, v40, vcc
	v_cndmask_b32_e32 v4, v40, v4, vcc
	v_sub_u32_e32 v9, v4, v7
	v_cmp_gt_i32_e32 vcc, 2, v9
	s_or_b64 s[30:31], vcc, s[30:31]
	s_andn2_b64 exec, exec, s[30:31]
	s_cbranch_execnz .LBB1_80
; %bb.81:                               ;   in Loop: Header=BB1_19 Depth=1
	s_or_b64 exec, exec, s[30:31]
	v_add_u32_e32 v4, -1, v4
.LBB1_82:                               ;   in Loop: Header=BB1_19 Depth=1
	s_or_b64 exec, exec, s[18:19]
.LBB1_83:                               ;   in Loop: Header=BB1_19 Depth=1
	s_or_b64 exec, exec, s[10:11]
	v_cmp_lt_i32_e32 vcc, -1, v4
	s_mov_b64 s[18:19], -1
                                        ; implicit-def: $vgpr2
	s_and_saveexec_b64 s[10:11], vcc
	s_cbranch_execz .LBB1_93
; %bb.84:                               ;   in Loop: Header=BB1_19 Depth=1
	global_load_dword v7, v41, s[72:73]
	v_fma_f32 v2, v64, v1, v25
	s_waitcnt vmcnt(0)
	v_cmp_nlt_f32_e32 vcc, v2, v7
	v_mov_b32_e32 v7, -1
	s_and_saveexec_b64 s[18:19], vcc
	s_cbranch_execz .LBB1_90
; %bb.85:                               ;   in Loop: Header=BB1_19 Depth=1
	global_load_dword v7, v41, s[82:83]
	v_readlane_b32 s30, v127, 16
	s_waitcnt vmcnt(0)
	v_cmp_gt_f32_e32 vcc, v2, v7
	v_mov_b32_e32 v9, s30
	v_readlane_b32 s30, v127, 9
	v_readlane_b32 s31, v127, 10
	s_nor_b64 s[70:71], vcc, s[30:31]
	v_readlane_b32 s30, v127, 7
	v_readlane_b32 s31, v127, 8
	v_cndmask_b32_e64 v7, 0, -1, vcc
	s_or_b64 vcc, vcc, s[30:31]
	v_cndmask_b32_e32 v7, v9, v7, vcc
	s_and_saveexec_b64 s[30:31], s[70:71]
	s_cbranch_execz .LBB1_89
; %bb.86:                               ;   in Loop: Header=BB1_19 Depth=1
	v_mov_b32_e32 v9, 0
	s_mov_b64 s[70:71], 0
	v_mov_b32_e32 v7, s22
.LBB1_87:                               ;   Parent Loop BB1_19 Depth=1
                                        ; =>  This Inner Loop Header: Depth=2
	v_add_u32_e32 v12, v9, v7
	v_lshrrev_b32_e32 v40, 1, v12
	v_lshl_add_u64 v[12:13], v[40:41], 2, s[72:73]
	global_load_dword v12, v[12:13], off
	s_waitcnt vmcnt(0)
	v_cmp_nle_f32_e32 vcc, v2, v12
	s_nop 1
	v_cndmask_b32_e32 v9, v9, v40, vcc
	v_cndmask_b32_e32 v7, v40, v7, vcc
	v_sub_u32_e32 v12, v7, v9
	v_cmp_gt_i32_e32 vcc, 2, v12
	s_or_b64 s[70:71], vcc, s[70:71]
	s_andn2_b64 exec, exec, s[70:71]
	s_cbranch_execnz .LBB1_87
; %bb.88:                               ;   in Loop: Header=BB1_19 Depth=1
	s_or_b64 exec, exec, s[70:71]
	v_add_u32_e32 v7, -1, v7
.LBB1_89:                               ;   in Loop: Header=BB1_19 Depth=1
	s_or_b64 exec, exec, s[30:31]
.LBB1_90:                               ;   in Loop: Header=BB1_19 Depth=1
	s_or_b64 exec, exec, s[18:19]
	v_cmp_lt_i32_e32 vcc, -1, v7
	s_mov_b64 s[18:19], -1
                                        ; implicit-def: $vgpr2
	s_and_saveexec_b64 s[30:31], vcc
; %bb.91:                               ;   in Loop: Header=BB1_19 Depth=1
	v_mad_u64_u32 v[12:13], s[18:19], v7, s21, v[4:5]
	v_mul_lo_u32 v0, s20, v12
	v_add3_u32 v2, v8, v0, 1
	s_xor_b64 s[18:19], exec, -1
	v_mov_b32_e32 v0, v1
; %bb.92:                               ;   in Loop: Header=BB1_19 Depth=1
	s_or_b64 exec, exec, s[30:31]
	s_orn2_b64 s[18:19], s[18:19], exec
.LBB1_93:                               ;   in Loop: Header=BB1_19 Depth=1
	s_or_b64 exec, exec, s[10:11]
	s_and_b64 s[18:19], s[18:19], exec
	v_mov_b32_e32 v7, v55
	s_andn2_saveexec_b64 s[4:5], s[4:5]
	s_cbranch_execnz .LBB1_96
.LBB1_94:                               ;   in Loop: Header=BB1_19 Depth=1
	s_or_b64 exec, exec, s[4:5]
	s_and_saveexec_b64 s[10:11], s[18:19]
	s_cbranch_execnz .LBB1_97
	s_branch .LBB1_148
.LBB1_95:                               ;   in Loop: Header=BB1_19 Depth=1
	s_andn2_saveexec_b64 s[4:5], s[4:5]
	s_cbranch_execz .LBB1_94
.LBB1_96:                               ;   in Loop: Header=BB1_19 Depth=1
	s_or_b64 s[18:19], s[18:19], exec
	s_or_b64 exec, exec, s[4:5]
	s_and_saveexec_b64 s[10:11], s[18:19]
	s_cbranch_execz .LBB1_148
.LBB1_97:                               ;   in Loop: Header=BB1_19 Depth=1
	s_waitcnt vmcnt(0)
	v_cmp_nle_f32_e32 vcc, v7, v6
	v_cmp_nlt_f32_e64 s[4:5], 0, v27
	s_or_b64 s[4:5], vcc, s[4:5]
                                        ; implicit-def: $vgpr4
	s_and_saveexec_b64 s[18:19], s[4:5]
	s_xor_b64 s[18:19], exec, s[18:19]
	s_cbranch_execz .LBB1_101
; %bb.98:                               ;   in Loop: Header=BB1_19 Depth=1
	global_load_dword v8, v41, s[76:77]
	v_cmp_gt_f32_e32 vcc, 0, v27
	v_mov_b32_e32 v4, -1
	s_waitcnt vmcnt(0)
	v_cmp_ge_f32_e64 s[4:5], v7, v8
	s_and_b64 s[30:31], s[4:5], vcc
	s_and_saveexec_b64 s[4:5], s[30:31]
	s_cbranch_execz .LBB1_100
; %bb.99:                               ;   in Loop: Header=BB1_19 Depth=1
	v_sub_f32_e32 v1, v8, v7
	v_div_scale_f32 v4, s[30:31], v27, v27, v1
	v_rcp_f32_e32 v8, v4
	v_div_scale_f32 v9, vcc, v1, v27, v1
	v_readlane_b32 s30, v127, 11
	v_fma_f32 v12, -v4, v8, 1.0
	v_fmac_f32_e32 v8, v12, v8
	v_mul_f32_e32 v12, v9, v8
	v_fma_f32 v13, -v4, v12, v9
	v_fmac_f32_e32 v12, v13, v8
	v_fma_f32 v4, -v4, v12, v9
	v_div_fmas_f32 v4, v4, v8, v12
	v_div_fixup_f32 v1, v4, v27, v1
	v_mov_b32_e32 v4, s30
.LBB1_100:                              ;   in Loop: Header=BB1_19 Depth=1
	s_or_b64 exec, exec, s[4:5]
.LBB1_101:                              ;   in Loop: Header=BB1_19 Depth=1
	s_andn2_saveexec_b64 s[4:5], s[18:19]
	s_cbranch_execz .LBB1_103
; %bb.102:                              ;   in Loop: Header=BB1_19 Depth=1
	v_sub_f32_e32 v1, v6, v7
	v_div_scale_f32 v4, s[18:19], v27, v27, v1
	v_rcp_f32_e32 v8, v4
	v_div_scale_f32 v9, vcc, v1, v27, v1
	v_fma_f32 v12, -v4, v8, 1.0
	v_fmac_f32_e32 v8, v12, v8
	v_mul_f32_e32 v12, v9, v8
	v_fma_f32 v13, -v4, v12, v9
	v_fmac_f32_e32 v12, v13, v8
	v_fma_f32 v4, -v4, v12, v9
	v_div_fmas_f32 v4, v4, v8, v12
	v_div_fixup_f32 v1, v4, v27, v1
	v_mov_b32_e32 v4, 0
.LBB1_103:                              ;   in Loop: Header=BB1_19 Depth=1
	s_or_b64 exec, exec, s[4:5]
	v_cmp_lt_i32_e32 vcc, -1, v4
	v_cmp_le_f32_e64 s[4:5], v1, v0
	s_and_b64 s[18:19], vcc, s[4:5]
	s_mov_b64 s[30:31], -1
	s_and_saveexec_b64 s[4:5], s[18:19]
	s_cbranch_execz .LBB1_121
; %bb.104:                              ;   in Loop: Header=BB1_19 Depth=1
	v_fma_f32 v9, v26, v1, v54
	v_cmp_nlt_f32_e32 vcc, v9, v5
	v_mov_b32_e32 v8, -1
	s_and_saveexec_b64 s[18:19], vcc
	s_cbranch_execz .LBB1_110
; %bb.105:                              ;   in Loop: Header=BB1_19 Depth=1
	global_load_dword v8, v41, s[74:75]
	v_readlane_b32 s30, v127, 2
	s_waitcnt vmcnt(0)
	v_cmp_gt_f32_e32 vcc, v9, v8
	v_mov_b32_e32 v12, s30
	v_readlane_b32 s30, v127, 14
	v_readlane_b32 s31, v127, 15
	s_nor_b64 s[70:71], vcc, s[30:31]
	v_readlane_b32 s30, v127, 12
	v_readlane_b32 s31, v127, 13
	v_cndmask_b32_e64 v8, 0, -1, vcc
	s_or_b64 vcc, vcc, s[30:31]
	v_cndmask_b32_e32 v8, v12, v8, vcc
	s_and_saveexec_b64 s[30:31], s[70:71]
	s_cbranch_execz .LBB1_109
; %bb.106:                              ;   in Loop: Header=BB1_19 Depth=1
	v_mov_b32_e32 v12, 0
	s_mov_b64 s[70:71], 0
	v_mov_b32_e32 v8, s20
.LBB1_107:                              ;   Parent Loop BB1_19 Depth=1
                                        ; =>  This Inner Loop Header: Depth=2
	v_add_u32_e32 v13, v12, v8
	v_lshrrev_b32_e32 v40, 1, v13
	v_lshl_add_u64 v[14:15], v[40:41], 2, s[24:25]
	global_load_dword v13, v[14:15], off
	s_waitcnt vmcnt(0)
	v_cmp_nle_f32_e32 vcc, v9, v13
	s_nop 1
	v_cndmask_b32_e32 v12, v12, v40, vcc
	v_cndmask_b32_e32 v8, v40, v8, vcc
	v_sub_u32_e32 v13, v8, v12
	v_cmp_gt_i32_e32 vcc, 2, v13
	s_or_b64 s[70:71], vcc, s[70:71]
	s_andn2_b64 exec, exec, s[70:71]
	s_cbranch_execnz .LBB1_107
; %bb.108:                              ;   in Loop: Header=BB1_19 Depth=1
	s_or_b64 exec, exec, s[70:71]
	v_add_u32_e32 v8, -1, v8
.LBB1_109:                              ;   in Loop: Header=BB1_19 Depth=1
	s_or_b64 exec, exec, s[30:31]
.LBB1_110:                              ;   in Loop: Header=BB1_19 Depth=1
	s_or_b64 exec, exec, s[18:19]
	v_cmp_lt_i32_e32 vcc, -1, v8
	s_mov_b64 s[30:31], -1
	s_and_saveexec_b64 s[18:19], vcc
	s_cbranch_execz .LBB1_120
; %bb.111:                              ;   in Loop: Header=BB1_19 Depth=1
	global_load_dword v12, v41, s[72:73]
	v_fma_f32 v9, v64, v1, v25
	s_waitcnt vmcnt(0)
	v_cmp_nlt_f32_e32 vcc, v9, v12
	v_mov_b32_e32 v12, -1
	s_and_saveexec_b64 s[30:31], vcc
	s_cbranch_execz .LBB1_117
; %bb.112:                              ;   in Loop: Header=BB1_19 Depth=1
	global_load_dword v12, v41, s[82:83]
	v_readlane_b32 s70, v127, 16
	v_readlane_b32 s78, v127, 7
	;; [unrolled: 1-line block ×3, first 2 shown]
	v_mov_b32_e32 v13, s70
	v_readlane_b32 s70, v127, 9
	v_readlane_b32 s71, v127, 10
	s_waitcnt vmcnt(0)
	v_cmp_gt_f32_e32 vcc, v9, v12
	s_nop 1
	v_cndmask_b32_e64 v12, 0, -1, vcc
	s_nor_b64 s[70:71], vcc, s[70:71]
	s_or_b64 vcc, vcc, s[78:79]
	v_cndmask_b32_e32 v12, v13, v12, vcc
	s_and_saveexec_b64 s[78:79], s[70:71]
	s_cbranch_execz .LBB1_116
; %bb.113:                              ;   in Loop: Header=BB1_19 Depth=1
	v_mov_b32_e32 v13, 0
	s_mov_b64 s[70:71], 0
	v_mov_b32_e32 v12, s22
.LBB1_114:                              ;   Parent Loop BB1_19 Depth=1
                                        ; =>  This Inner Loop Header: Depth=2
	v_add_u32_e32 v14, v13, v12
	v_lshrrev_b32_e32 v40, 1, v14
	v_lshl_add_u64 v[14:15], v[40:41], 2, s[72:73]
	global_load_dword v14, v[14:15], off
	s_waitcnt vmcnt(0)
	v_cmp_nle_f32_e32 vcc, v9, v14
	s_nop 1
	v_cndmask_b32_e32 v13, v13, v40, vcc
	v_cndmask_b32_e32 v12, v40, v12, vcc
	v_sub_u32_e32 v14, v12, v13
	v_cmp_gt_i32_e32 vcc, 2, v14
	s_or_b64 s[70:71], vcc, s[70:71]
	s_andn2_b64 exec, exec, s[70:71]
	s_cbranch_execnz .LBB1_114
; %bb.115:                              ;   in Loop: Header=BB1_19 Depth=1
	s_or_b64 exec, exec, s[70:71]
	v_add_u32_e32 v12, -1, v12
.LBB1_116:                              ;   in Loop: Header=BB1_19 Depth=1
	s_or_b64 exec, exec, s[78:79]
.LBB1_117:                              ;   in Loop: Header=BB1_19 Depth=1
	s_or_b64 exec, exec, s[30:31]
	v_cmp_lt_i32_e32 vcc, -1, v12
	s_mov_b64 s[30:31], -1
	s_and_saveexec_b64 s[70:71], vcc
; %bb.118:                              ;   in Loop: Header=BB1_19 Depth=1
	v_mad_u64_u32 v[12:13], s[30:31], s21, v12, v[4:5]
	v_mul_lo_u32 v0, v12, s20
	v_add3_u32 v2, v8, v0, 1
	s_xor_b64 s[30:31], exec, -1
	v_mov_b32_e32 v0, v1
; %bb.119:                              ;   in Loop: Header=BB1_19 Depth=1
	s_or_b64 exec, exec, s[70:71]
	s_orn2_b64 s[30:31], s[30:31], exec
.LBB1_120:                              ;   in Loop: Header=BB1_19 Depth=1
	s_or_b64 exec, exec, s[18:19]
	s_orn2_b64 s[30:31], s[30:31], exec
.LBB1_121:                              ;   in Loop: Header=BB1_19 Depth=1
	s_or_b64 exec, exec, s[4:5]
	s_and_saveexec_b64 s[18:19], s[30:31]
	s_cbranch_execz .LBB1_147
; %bb.122:                              ;   in Loop: Header=BB1_19 Depth=1
	global_load_dword v2, v41, s[72:73]
	v_cmp_nlt_f32_e64 s[4:5], 0, v64
                                        ; implicit-def: $vgpr8
	s_waitcnt vmcnt(0)
	v_cmp_nle_f32_e32 vcc, v25, v2
	s_or_b64 s[4:5], vcc, s[4:5]
	s_and_saveexec_b64 s[30:31], s[4:5]
	s_xor_b64 s[30:31], exec, s[30:31]
	s_cbranch_execz .LBB1_126
; %bb.123:                              ;   in Loop: Header=BB1_19 Depth=1
	global_load_dword v2, v41, s[82:83]
	v_cmp_gt_f32_e32 vcc, 0, v64
	v_mov_b32_e32 v8, -1
	s_waitcnt vmcnt(0)
	v_cmp_ge_f32_e64 s[4:5], v25, v2
	s_and_b64 s[70:71], s[4:5], vcc
	s_and_saveexec_b64 s[4:5], s[70:71]
	s_cbranch_execz .LBB1_125
; %bb.124:                              ;   in Loop: Header=BB1_19 Depth=1
	v_sub_f32_e32 v1, v2, v25
	v_div_scale_f32 v2, s[70:71], v64, v64, v1
	v_rcp_f32_e32 v4, v2
	v_div_scale_f32 v8, vcc, v1, v64, v1
	v_readlane_b32 s70, v127, 16
	v_fma_f32 v9, -v2, v4, 1.0
	v_fmac_f32_e32 v4, v9, v4
	v_mul_f32_e32 v9, v8, v4
	v_fma_f32 v12, -v2, v9, v8
	v_fmac_f32_e32 v9, v12, v4
	v_fma_f32 v2, -v2, v9, v8
	v_div_fmas_f32 v2, v2, v4, v9
	v_div_fixup_f32 v1, v2, v64, v1
	v_mov_b32_e32 v8, s70
.LBB1_125:                              ;   in Loop: Header=BB1_19 Depth=1
	s_or_b64 exec, exec, s[4:5]
                                        ; implicit-def: $vgpr2
.LBB1_126:                              ;   in Loop: Header=BB1_19 Depth=1
	s_andn2_saveexec_b64 s[4:5], s[30:31]
	s_cbranch_execz .LBB1_128
; %bb.127:                              ;   in Loop: Header=BB1_19 Depth=1
	v_sub_f32_e32 v1, v2, v25
	v_div_scale_f32 v2, s[30:31], v64, v64, v1
	v_rcp_f32_e32 v4, v2
	v_div_scale_f32 v8, vcc, v1, v64, v1
	v_fma_f32 v9, -v2, v4, 1.0
	v_fmac_f32_e32 v4, v9, v4
	v_mul_f32_e32 v9, v8, v4
	v_fma_f32 v12, -v2, v9, v8
	v_fmac_f32_e32 v9, v12, v4
	v_fma_f32 v2, -v2, v9, v8
	v_div_fmas_f32 v2, v2, v4, v9
	v_div_fixup_f32 v1, v2, v64, v1
	v_mov_b32_e32 v8, 0
.LBB1_128:                              ;   in Loop: Header=BB1_19 Depth=1
	s_or_b64 exec, exec, s[4:5]
	v_cmp_lt_i32_e32 vcc, -1, v8
	v_cmp_le_f32_e64 s[4:5], v1, v0
	s_and_b64 s[30:31], vcc, s[4:5]
	v_mov_b32_e32 v2, 0
	s_and_saveexec_b64 s[4:5], s[30:31]
	s_cbranch_execz .LBB1_146
; %bb.129:                              ;   in Loop: Header=BB1_19 Depth=1
	v_fma_f32 v2, v26, v1, v54
	v_cmp_nlt_f32_e32 vcc, v2, v5
	v_mov_b32_e32 v5, -1
	s_and_saveexec_b64 s[30:31], vcc
	s_cbranch_execz .LBB1_135
; %bb.130:                              ;   in Loop: Header=BB1_19 Depth=1
	global_load_dword v4, v41, s[74:75]
	v_readlane_b32 s70, v127, 2
	v_readlane_b32 s78, v127, 12
	v_readlane_b32 s79, v127, 13
	v_mov_b32_e32 v5, s70
	v_readlane_b32 s70, v127, 14
	v_readlane_b32 s71, v127, 15
	s_waitcnt vmcnt(0)
	v_cmp_gt_f32_e32 vcc, v2, v4
	s_nop 1
	v_cndmask_b32_e64 v4, 0, -1, vcc
	s_nor_b64 s[70:71], vcc, s[70:71]
	s_or_b64 vcc, vcc, s[78:79]
	v_cndmask_b32_e32 v5, v5, v4, vcc
	s_and_saveexec_b64 s[78:79], s[70:71]
	s_cbranch_execz .LBB1_134
; %bb.131:                              ;   in Loop: Header=BB1_19 Depth=1
	v_mov_b32_e32 v5, 0
	s_mov_b64 s[70:71], 0
	v_mov_b32_e32 v4, s20
.LBB1_132:                              ;   Parent Loop BB1_19 Depth=1
                                        ; =>  This Inner Loop Header: Depth=2
	v_add_u32_e32 v9, v5, v4
	v_lshrrev_b32_e32 v40, 1, v9
	v_lshl_add_u64 v[12:13], v[40:41], 2, s[24:25]
	global_load_dword v9, v[12:13], off
	s_waitcnt vmcnt(0)
	v_cmp_nle_f32_e32 vcc, v2, v9
	s_nop 1
	v_cndmask_b32_e32 v5, v5, v40, vcc
	v_cndmask_b32_e32 v4, v40, v4, vcc
	v_sub_u32_e32 v9, v4, v5
	v_cmp_gt_i32_e32 vcc, 2, v9
	s_or_b64 s[70:71], vcc, s[70:71]
	s_andn2_b64 exec, exec, s[70:71]
	s_cbranch_execnz .LBB1_132
; %bb.133:                              ;   in Loop: Header=BB1_19 Depth=1
	s_or_b64 exec, exec, s[70:71]
	v_add_u32_e32 v5, -1, v4
.LBB1_134:                              ;   in Loop: Header=BB1_19 Depth=1
	s_or_b64 exec, exec, s[78:79]
.LBB1_135:                              ;   in Loop: Header=BB1_19 Depth=1
	s_or_b64 exec, exec, s[30:31]
	v_cmp_lt_i32_e32 vcc, -1, v5
	v_mov_b32_e32 v2, 0
	s_and_saveexec_b64 s[30:31], vcc
	s_cbranch_execz .LBB1_145
; %bb.136:                              ;   in Loop: Header=BB1_19 Depth=1
	v_fmac_f32_e32 v7, v27, v1
	v_cmp_nlt_f32_e32 vcc, v7, v6
	v_mov_b32_e32 v4, -1
	s_and_saveexec_b64 s[78:79], vcc
	s_cbranch_execz .LBB1_142
; %bb.137:                              ;   in Loop: Header=BB1_19 Depth=1
	global_load_dword v2, v41, s[76:77]
	v_readlane_b32 s70, v127, 11
	v_readlane_b32 s80, v127, 3
	;; [unrolled: 1-line block ×3, first 2 shown]
	v_mov_b32_e32 v4, s70
	v_readlane_b32 s70, v127, 5
	v_readlane_b32 s71, v127, 6
	s_waitcnt vmcnt(0)
	v_cmp_gt_f32_e32 vcc, v7, v2
	s_nop 1
	v_cndmask_b32_e64 v2, 0, -1, vcc
	s_nor_b64 s[70:71], vcc, s[70:71]
	s_or_b64 vcc, vcc, s[80:81]
	v_cndmask_b32_e32 v4, v4, v2, vcc
	s_and_saveexec_b64 s[80:81], s[70:71]
	s_cbranch_execz .LBB1_141
; %bb.138:                              ;   in Loop: Header=BB1_19 Depth=1
	v_mov_b32_e32 v4, 0
	s_mov_b64 s[70:71], 0
	v_mov_b32_e32 v2, s21
.LBB1_139:                              ;   Parent Loop BB1_19 Depth=1
                                        ; =>  This Inner Loop Header: Depth=2
	v_add_u32_e32 v6, v4, v2
	v_lshrrev_b32_e32 v40, 1, v6
	v_lshl_add_u64 v[12:13], v[40:41], 2, s[26:27]
	global_load_dword v6, v[12:13], off
	s_waitcnt vmcnt(0)
	v_cmp_nle_f32_e32 vcc, v7, v6
	s_nop 1
	v_cndmask_b32_e32 v4, v4, v40, vcc
	v_cndmask_b32_e32 v2, v40, v2, vcc
	v_sub_u32_e32 v6, v2, v4
	v_cmp_gt_i32_e32 vcc, 2, v6
	s_or_b64 s[70:71], vcc, s[70:71]
	s_andn2_b64 exec, exec, s[70:71]
	s_cbranch_execnz .LBB1_139
; %bb.140:                              ;   in Loop: Header=BB1_19 Depth=1
	s_or_b64 exec, exec, s[70:71]
	v_add_u32_e32 v4, -1, v2
.LBB1_141:                              ;   in Loop: Header=BB1_19 Depth=1
	s_or_b64 exec, exec, s[80:81]
.LBB1_142:                              ;   in Loop: Header=BB1_19 Depth=1
	s_or_b64 exec, exec, s[78:79]
	v_cmp_lt_i32_e32 vcc, -1, v4
	v_mov_b32_e32 v2, 0
	s_and_saveexec_b64 s[70:71], vcc
; %bb.143:                              ;   in Loop: Header=BB1_19 Depth=1
	v_mad_u64_u32 v[6:7], s[78:79], s21, v8, v[4:5]
	v_mul_lo_u32 v0, v6, s20
	v_add3_u32 v2, v5, v0, 1
	v_mov_b32_e32 v0, v1
; %bb.144:                              ;   in Loop: Header=BB1_19 Depth=1
	s_or_b64 exec, exec, s[70:71]
.LBB1_145:                              ;   in Loop: Header=BB1_19 Depth=1
	s_or_b64 exec, exec, s[30:31]
.LBB1_146:                              ;   in Loop: Header=BB1_19 Depth=1
	s_or_b64 exec, exec, s[4:5]
.LBB1_147:                              ;   in Loop: Header=BB1_19 Depth=1
	s_or_b64 exec, exec, s[18:19]
.LBB1_148:                              ;   in Loop: Header=BB1_19 Depth=1
	s_or_b64 exec, exec, s[10:11]
.LBB1_149:                              ;   in Loop: Header=BB1_19 Depth=1
	s_or_b64 exec, exec, s[8:9]
	v_cmp_eq_u32_e64 s[4:5], 0, v2
	s_and_b64 s[8:9], s[0:1], s[4:5]
	v_mov_b32_e32 v1, 0
	s_xor_b64 s[10:11], s[8:9], -1
	v_mov_b32_e32 v23, 1
	v_mov_b32_e32 v40, -1
	s_and_saveexec_b64 s[8:9], s[10:11]
	s_cbranch_execz .LBB1_157
; %bb.150:                              ;   in Loop: Header=BB1_19 Depth=1
	s_and_saveexec_b64 s[10:11], s[2:3]
	s_cbranch_execz .LBB1_152
; %bb.151:                              ;   in Loop: Header=BB1_19 Depth=1
	v_div_scale_f32 v1, s[2:3], v11, v11, v0
	v_rcp_f32_e32 v4, v1
	v_div_scale_f32 v5, vcc, v0, v11, v0
	s_waitcnt vmcnt(0)
	v_fma_f32 v6, -v1, v4, 1.0
	v_fmac_f32_e32 v4, v6, v4
	v_mul_f32_e32 v6, v5, v4
	v_fma_f32 v7, -v1, v6, v5
	v_fmac_f32_e32 v6, v7, v4
	v_fma_f32 v1, -v1, v6, v5
	v_div_fmas_f32 v1, v1, v4, v6
	v_div_fixup_f32 v1, v1, v11, v0
	v_sub_f32_e64 v1, -v3, v1
	v_max_f32_e32 v10, 0, v1
.LBB1_152:                              ;   in Loop: Header=BB1_19 Depth=1
	s_or_b64 exec, exec, s[10:11]
	v_cmp_ne_u32_e32 vcc, v2, v70
	v_mov_b32_e32 v40, v28
	s_and_saveexec_b64 s[2:3], vcc
	s_cbranch_execz .LBB1_154
; %bb.153:                              ;   in Loop: Header=BB1_19 Depth=1
	v_mov_b32_e32 v3, v41
	v_lshl_add_u64 v[4:5], v[2:3], 4, s[64:65]
	global_load_dword v40, v[4:5], off
	global_load_dword v63, v[4:5], off offset:8
	v_mov_b32_e32 v70, v2
	s_waitcnt vmcnt(1)
	v_lshrrev_b32_e32 v24, 16, v40
.LBB1_154:                              ;   in Loop: Header=BB1_19 Depth=1
	s_or_b64 exec, exec, s[2:3]
	s_waitcnt vmcnt(0)
	v_cmp_nle_f32_e32 vcc, v68, v63
	v_mov_b32_e32 v23, 0
	s_and_saveexec_b64 s[2:3], vcc
; %bb.155:                              ;   in Loop: Header=BB1_19 Depth=1
	s_xor_b64 s[0:1], s[0:1], -1
	s_and_b64 s[0:1], s[4:5], s[0:1]
	v_cndmask_b32_e64 v23, 2, 1, s[0:1]
; %bb.156:                              ;   in Loop: Header=BB1_19 Depth=1
	s_or_b64 exec, exec, s[2:3]
	v_pk_fma_f32 v[54:55], v[26:27], v[0:1], v[54:55] op_sel_hi:[1,0,1]
	v_fmac_f32_e32 v25, v64, v0
	v_mov_b32_e32 v1, v70
.LBB1_157:                              ;   in Loop: Header=BB1_19 Depth=1
	s_or_b64 exec, exec, s[8:9]
	v_mov_b32_e32 v70, v1
.LBB1_158:                              ;   in Loop: Header=BB1_19 Depth=1
	s_or_b64 exec, exec, s[6:7]
	v_cmp_eq_u16_sdwa s[0:1], v23, v74 src0_sel:BYTE_0 src1_sel:DWORD
	s_and_b64 s[0:1], s[16:17], s[0:1]
	s_mov_b64 s[18:19], 0
	s_and_saveexec_b64 s[2:3], s[0:1]
; %bb.159:                              ;   in Loop: Header=BB1_19 Depth=1
	v_cmp_eq_u16_e32 vcc, v40, v28
	v_cmp_ne_u16_e64 s[0:1], -1, v40
	s_mov_b32 s4, 0x3727c5ac
	s_and_b64 s[0:1], vcc, s[0:1]
	v_cmp_nle_f32_e32 vcc, s4, v10
	s_and_b64 s[0:1], vcc, s[0:1]
	v_mov_b32_e32 v23, 2
	s_and_b64 s[18:19], s[0:1], exec
; %bb.160:                              ;   in Loop: Header=BB1_19 Depth=1
	s_or_b64 exec, exec, s[2:3]
	flat_load_ubyte v0, v[46:47] sc0 sc1
	s_waitcnt vmcnt(0) lgkmcnt(0)
	v_cmp_lt_u32_e32 vcc, 1, v0
	v_add_u32_e32 v0, 1, v0
	s_and_saveexec_b64 s[70:71], vcc
	s_cbranch_execz .LBB1_162
; %bb.161:                              ;   in Loop: Header=BB1_19 Depth=1
	s_add_u32 s8, s12, 8
	s_addc_u32 s9, s13, 0
	s_getpc_b64 s[0:1]
	s_add_u32 s0, s0, _Z17MT_generate_arrayv@rel32@lo+4
	s_addc_u32 s1, s1, _Z17MT_generate_arrayv@rel32@hi+12
	s_swappc_b64 s[30:31], s[0:1]
	v_mov_b32_e32 v0, 0
.LBB1_162:                              ;   in Loop: Header=BB1_19 Depth=1
	s_or_b64 exec, exec, s[70:71]
	s_and_saveexec_b64 s[0:1], s[14:15]
	s_cbranch_execz .LBB1_164
; %bb.163:                              ;   in Loop: Header=BB1_19 Depth=1
	flat_store_byte v[46:47], v0 sc0 sc1
	s_waitcnt vmcnt(0)
.LBB1_164:                              ;   in Loop: Header=BB1_19 Depth=1
	s_or_b64 exec, exec, s[0:1]
	v_lshl_add_u32 v0, v0, 7, v75
	ds_read_b32 v28, v0
	flat_load_ubyte v0, v[46:47] sc0 sc1
	s_waitcnt vmcnt(0) lgkmcnt(0)
	v_cmp_lt_u32_e32 vcc, 1, v0
	v_add_u32_e32 v2, 1, v0
	s_and_saveexec_b64 s[70:71], vcc
	s_cbranch_execz .LBB1_166
; %bb.165:                              ;   in Loop: Header=BB1_19 Depth=1
	s_add_u32 s8, s12, 8
	s_addc_u32 s9, s13, 0
	s_getpc_b64 s[0:1]
	s_add_u32 s0, s0, _Z17MT_generate_arrayv@rel32@lo+4
	s_addc_u32 s1, s1, _Z17MT_generate_arrayv@rel32@hi+12
	s_swappc_b64 s[30:31], s[0:1]
	v_mov_b32_e32 v2, 0
.LBB1_166:                              ;   in Loop: Header=BB1_19 Depth=1
	s_or_b64 exec, exec, s[70:71]
	s_and_saveexec_b64 s[0:1], s[14:15]
	s_cbranch_execz .LBB1_168
; %bb.167:                              ;   in Loop: Header=BB1_19 Depth=1
	flat_store_byte v[46:47], v2 sc0 sc1
	s_waitcnt vmcnt(0)
.LBB1_168:                              ;   in Loop: Header=BB1_19 Depth=1
	s_or_b64 exec, exec, s[0:1]
	v_and_b32_e32 v0, 1, v24
	v_cmp_eq_u32_e32 vcc, 1, v0
	v_sub_f32_e32 v0, 1.0, v60
	s_and_b64 s[0:1], s[18:19], vcc
	v_cmp_lt_f32_e32 vcc, v28, v0
	s_and_b64 s[0:1], s[0:1], vcc
	v_cndmask_b32_e64 v23, v23, 3, s[0:1]
	s_xor_b64 s[0:1], s[0:1], -1
	s_and_b64 s[0:1], s[0:1], s[18:19]
	s_and_saveexec_b64 s[2:3], s[0:1]
	s_cbranch_execz .LBB1_172
; %bb.169:                              ;   in Loop: Header=BB1_19 Depth=1
	v_and_b32_e32 v0, 0xffff, v40
	v_mad_u32_u24 v0, v0, s62, v29
	v_ashrrev_i32_e32 v1, 31, v0
	v_lshl_add_u64 v[4:5], v[0:1], 3, s[92:93]
	global_load_dwordx2 v[4:5], v[4:5], off
	v_lshl_add_u32 v2, v2, 7, v75
	ds_read_b32 v2, v2
	s_mov_b32 s0, 0x3f82d11e
	v_cmp_nlt_f32_e32 vcc, s0, v68
	v_mov_b32_e32 v23, 6
	s_waitcnt vmcnt(0)
	v_fmac_f32_e32 v4, v30, v5
	s_waitcnt lgkmcnt(0)
	v_cmp_nle_f32_e64 s[0:1], v2, v4
	s_or_b64 s[4:5], s[0:1], vcc
	s_and_saveexec_b64 s[0:1], s[4:5]
	s_cbranch_execz .LBB1_171
; %bb.170:                              ;   in Loop: Header=BB1_19 Depth=1
	v_lshl_add_u64 v[0:1], v[0:1], 3, s[94:95]
	global_load_dwordx2 v[0:1], v[0:1], off
	s_waitcnt vmcnt(0)
	v_fmac_f32_e32 v0, v30, v1
	v_cmp_lt_f32_e32 vcc, v2, v0
	s_nop 1
	v_cndmask_b32_e64 v23, 5, 4, vcc
.LBB1_171:                              ;   in Loop: Header=BB1_19 Depth=1
	s_or_b64 exec, exec, s[0:1]
.LBB1_172:                              ;   in Loop: Header=BB1_19 Depth=1
	s_or_b64 exec, exec, s[2:3]
	v_cndmask_b32_e64 v0, 0, 1, s[16:17]
	v_cmp_ne_u32_e32 vcc, 0, v0
	s_and_saveexec_b64 s[0:1], s[14:15]
	s_cbranch_execz .LBB1_174
; %bb.173:                              ;   in Loop: Header=BB1_19 Depth=1
	flat_load_dword v0, v[48:49] sc0 sc1
	s_waitcnt vmcnt(0)
	s_bcnt1_i32_b32 s2, vcc_lo
	s_waitcnt lgkmcnt(0)
	v_add_u32_e32 v0, s2, v0
	flat_store_dword v[48:49], v0 sc0 sc1
	s_waitcnt vmcnt(0)
	flat_load_dword v0, v[50:51] sc0 sc1
	s_waitcnt vmcnt(0) lgkmcnt(0)
	v_add_u32_e32 v0, 1, v0
	flat_store_dword v[50:51], v0 sc0 sc1
	s_waitcnt vmcnt(0)
.LBB1_174:                              ;   in Loop: Header=BB1_19 Depth=1
	s_or_b64 exec, exec, s[0:1]
.LBB1_175:                              ;   in Loop: Header=BB1_19 Depth=1
	v_cndmask_b32_e64 v2, 0, 1, s[16:17]
	v_cmp_ne_u32_e32 vcc, 0, v2
	s_cmp_eq_u64 vcc, exec
	s_mov_b64 s[90:91], -1
	s_cbranch_scc1 .LBB1_195
; %bb.176:                              ;   in Loop: Header=BB1_19 Depth=1
	v_mov_b32_e32 v0, 7
	v_cmp_eq_u16_sdwa s[18:19], v23, v0 src0_sel:BYTE_0 src1_sel:DWORD
	s_mov_b64 vcc, s[18:19]
	s_cbranch_vccz .LBB1_203
; %bb.177:                              ;   in Loop: Header=BB1_19 Depth=1
	flat_load_ubyte v0, v[46:47] sc0 sc1
	s_waitcnt vmcnt(0) lgkmcnt(0)
	v_cmp_lt_u32_e32 vcc, 1, v0
	v_add_u32_e32 v0, 1, v0
	s_and_saveexec_b64 s[70:71], vcc
	s_cbranch_execz .LBB1_179
; %bb.178:                              ;   in Loop: Header=BB1_19 Depth=1
	s_add_u32 s8, s12, 8
	s_addc_u32 s9, s13, 0
	s_getpc_b64 s[0:1]
	s_add_u32 s0, s0, _Z17MT_generate_arrayv@rel32@lo+4
	s_addc_u32 s1, s1, _Z17MT_generate_arrayv@rel32@hi+12
	s_swappc_b64 s[30:31], s[0:1]
	v_mov_b32_e32 v0, 0
.LBB1_179:                              ;   in Loop: Header=BB1_19 Depth=1
	s_or_b64 exec, exec, s[70:71]
	s_and_saveexec_b64 s[0:1], s[14:15]
	s_cbranch_execz .LBB1_181
; %bb.180:                              ;   in Loop: Header=BB1_19 Depth=1
	flat_store_byte v[46:47], v0 sc0 sc1
	s_waitcnt vmcnt(0)
.LBB1_181:                              ;   in Loop: Header=BB1_19 Depth=1
	s_or_b64 exec, exec, s[0:1]
	v_lshl_add_u32 v0, v0, 7, v75
	ds_read_b32 v28, v0
	flat_load_ubyte v0, v[46:47] sc0 sc1
	s_waitcnt vmcnt(0) lgkmcnt(0)
	v_cmp_lt_u32_e32 vcc, 1, v0
	v_add_u32_e32 v0, 1, v0
	s_and_saveexec_b64 s[70:71], vcc
	s_cbranch_execz .LBB1_183
; %bb.182:                              ;   in Loop: Header=BB1_19 Depth=1
	s_add_u32 s8, s12, 8
	s_addc_u32 s9, s13, 0
	s_getpc_b64 s[0:1]
	s_add_u32 s0, s0, _Z17MT_generate_arrayv@rel32@lo+4
	s_addc_u32 s1, s1, _Z17MT_generate_arrayv@rel32@hi+12
	s_swappc_b64 s[30:31], s[0:1]
	v_mov_b32_e32 v0, 0
.LBB1_183:                              ;   in Loop: Header=BB1_19 Depth=1
	s_or_b64 exec, exec, s[70:71]
	s_and_saveexec_b64 s[0:1], s[14:15]
	s_cbranch_execz .LBB1_185
; %bb.184:                              ;   in Loop: Header=BB1_19 Depth=1
	flat_store_byte v[46:47], v0 sc0 sc1
	s_waitcnt vmcnt(0)
.LBB1_185:                              ;   in Loop: Header=BB1_19 Depth=1
	s_or_b64 exec, exec, s[0:1]
	v_lshl_add_u32 v0, v0, 7, v75
	ds_read_b32 v29, v0
	;; [unrolled: 25-line block ×3, first 2 shown]
	flat_load_ubyte v0, v[46:47] sc0 sc1
	s_waitcnt vmcnt(0) lgkmcnt(0)
	v_cmp_lt_u32_e32 vcc, 1, v0
	v_add_u32_e32 v0, 1, v0
	s_and_saveexec_b64 s[70:71], vcc
	s_cbranch_execz .LBB1_196
; %bb.190:                              ;   in Loop: Header=BB1_19 Depth=1
	s_add_u32 s8, s12, 8
	s_addc_u32 s9, s13, 0
	s_getpc_b64 s[0:1]
	s_add_u32 s0, s0, _Z17MT_generate_arrayv@rel32@lo+4
	s_addc_u32 s1, s1, _Z17MT_generate_arrayv@rel32@hi+12
	s_swappc_b64 s[30:31], s[0:1]
	v_mov_b32_e32 v0, 0
	s_or_b64 exec, exec, s[70:71]
	s_and_saveexec_b64 s[0:1], s[14:15]
	s_cbranch_execnz .LBB1_197
.LBB1_191:                              ;   in Loop: Header=BB1_19 Depth=1
	s_or_b64 exec, exec, s[0:1]
	v_mov_b32_e32 v1, 0
	s_and_saveexec_b64 s[2:3], s[18:19]
	s_cbranch_execz .LBB1_198
.LBB1_192:                              ;   in Loop: Header=BB1_19 Depth=1
	v_mul_f32_e32 v1, v24, v77
	v_cvt_i32_f32_e32 v2, v1
	v_lshl_add_u32 v0, v0, 7, v75
	ds_read_b32 v0, v0
	v_ashrrev_i32_e32 v3, 31, v2
	v_lshl_add_u64 v[4:5], v[2:3], 2, s[42:43]
	global_load_dword v1, v[4:5], off
	v_cvt_f32_i32_e32 v4, v2
	v_fma_f32 v4, v24, v77, -v4
	s_waitcnt vmcnt(0)
	v_cmp_gt_f32_e32 vcc, v4, v1
	s_and_saveexec_b64 s[0:1], vcc
	s_cbranch_execz .LBB1_194
; %bb.193:                              ;   in Loop: Header=BB1_19 Depth=1
	v_readlane_b32 s4, v127, 17
	v_readlane_b32 s5, v127, 18
	s_nop 1
	v_lshl_add_u64 v[2:3], v[2:3], 2, s[4:5]
	global_load_dword v2, v[2:3], off
	s_waitcnt vmcnt(0)
	v_ashrrev_i32_e32 v3, 31, v2
.LBB1_194:                              ;   in Loop: Header=BB1_19 Depth=1
	s_or_b64 exec, exec, s[0:1]
	v_lshl_add_u64 v[2:3], v[2:3], 2, s[40:41]
	global_load_dwordx2 v[2:3], v[2:3], off
	v_mov_b64_e32 v[4:5], s[98:99]
	v_pk_fma_f32 v[4:5], v[28:29], s[44:45], v[4:5]
	v_mov_b32_e32 v25, s38
	v_pk_add_f32 v[6:7], v[4:5], s[36:37] neg_lo:[0,1] neg_hi:[0,1]
	v_mov_b32_e32 v70, 0
	v_pk_mul_f32 v[4:5], v[6:7], v[6:7]
	v_mov_b32_e32 v83, 0
	v_add_f32_e32 v1, v4, v5
	v_mul_f32_e32 v4, v78, v78
	v_add_f32_e32 v1, v4, v1
	v_div_scale_f32 v4, s[0:1], v1, v1, 1.0
	v_rcp_f32_e32 v5, v4
	v_mov_b32_e32 v23, 2
	v_mov_b64_e32 v[54:55], s[36:37]
	v_mov_b32_e32 v76, 0
	v_fma_f32 v8, -v4, v5, 1.0
	v_fmac_f32_e32 v5, v8, v5
	v_div_scale_f32 v8, vcc, 1.0, v1, 1.0
	v_mul_f32_e32 v9, v8, v5
	v_fma_f32 v10, -v4, v9, v8
	v_fmac_f32_e32 v9, v10, v5
	v_fma_f32 v4, -v4, v9, v8
	v_div_fmas_f32 v4, v4, v5, v9
	v_div_fixup_f32 v5, v4, v1, 1.0
	v_cmp_gt_f32_e32 vcc, s23, v5
	v_mul_f32_e32 v1, 0x4f800000, v5
	v_mov_b32_e32 v22, 0
	v_cndmask_b32_e32 v1, v5, v1, vcc
	v_sqrt_f32_e32 v4, v1
	s_nop 0
	v_add_u32_e32 v8, -1, v4
	v_fma_f32 v9, -v8, v4, v1
	v_cmp_ge_f32_e64 s[0:1], 0, v9
	v_add_u32_e32 v9, 1, v4
	s_nop 0
	v_cndmask_b32_e64 v8, v4, v8, s[0:1]
	v_fma_f32 v4, -v9, v4, v1
	v_cmp_lt_f32_e64 s[0:1], 0, v4
	s_nop 1
	v_cndmask_b32_e64 v4, v8, v9, s[0:1]
	v_mul_f32_e32 v8, 0x37800000, v4
	v_cndmask_b32_e32 v4, v4, v8, vcc
	v_cmp_class_f32_e32 vcc, v1, v79
	s_nop 1
	v_cndmask_b32_e32 v4, v4, v1, vcc
	v_mul_f32_e32 v64, v78, v4
	v_pk_mul_f32 v[26:27], v[6:7], v[4:5] op_sel_hi:[1,0]
	v_and_b32_e32 v4, 0x7fffffff, v64
	v_mov_b32_e32 v1, s46
	s_waitcnt vmcnt(0)
	v_pk_add_f32 v[6:7], v[2:3], v[2:3] op_sel:[1,0] op_sel_hi:[0,1] neg_lo:[0,1] neg_hi:[0,1]
	v_mov_b32_e32 v7, v4
	s_waitcnt lgkmcnt(0)
	v_pk_mul_f32 v[8:9], v[0:1], v[6:7]
	v_mov_b32_e32 v4, v2
	v_pk_fma_f32 v[68:69], v[0:1], v[6:7], v[2:3]
	v_pk_mul_f32 v[0:1], v[4:5], v[8:9]
	s_nop 0
	v_mov_b32_e32 v69, v1
	s_or_b64 exec, exec, s[2:3]
	flat_store_dword v[52:53], v1 sc0 sc1
	s_waitcnt vmcnt(0)
	s_and_saveexec_b64 s[0:1], s[14:15]
	s_cbranch_execnz .LBB1_199
	s_branch .LBB1_200
.LBB1_195:                              ;   in Loop: Header=BB1_19 Depth=1
	v_mov_b32_e32 v24, v64
	s_mov_b64 s[0:1], -1
	s_cbranch_execz .LBB1_18
	s_branch .LBB1_336
.LBB1_196:                              ;   in Loop: Header=BB1_19 Depth=1
	s_or_b64 exec, exec, s[70:71]
	s_and_saveexec_b64 s[0:1], s[14:15]
	s_cbranch_execz .LBB1_191
.LBB1_197:                              ;   in Loop: Header=BB1_19 Depth=1
	flat_store_byte v[46:47], v0 sc0 sc1
	s_waitcnt vmcnt(0)
	s_or_b64 exec, exec, s[0:1]
	v_mov_b32_e32 v1, 0
	s_and_saveexec_b64 s[2:3], s[18:19]
	s_cbranch_execnz .LBB1_192
.LBB1_198:                              ;   in Loop: Header=BB1_19 Depth=1
	s_or_b64 exec, exec, s[2:3]
	flat_store_dword v[52:53], v1 sc0 sc1
	s_waitcnt vmcnt(0)
	s_and_saveexec_b64 s[0:1], s[14:15]
	s_cbranch_execz .LBB1_200
.LBB1_199:                              ;   in Loop: Header=BB1_19 Depth=1
	flat_load_dword v0, v[42:43] sc0 sc1
	s_waitcnt vmcnt(0)
	scratch_load_dwordx2 v[2:3], off, off   ; 8-byte Folded Reload
	s_waitcnt lgkmcnt(0)
	v_cvt_f64_f32_e32 v[0:1], v0
	s_waitcnt vmcnt(0)
	flat_load_dword v2, v[2:3] sc0 sc1
	s_waitcnt vmcnt(0)
	v_add_f64 v[0:1], v[0:1], 0
	s_waitcnt lgkmcnt(0)
	v_cvt_f64_f32_e32 v[2:3], v2
	v_add_f64 v[0:1], v[0:1], v[2:3]
	scratch_load_dwordx2 v[2:3], off, off offset:8 ; 8-byte Folded Reload
	s_waitcnt vmcnt(0)
	flat_load_dword v2, v[2:3] sc0 sc1
	s_waitcnt vmcnt(0) lgkmcnt(0)
	v_cvt_f64_f32_e32 v[2:3], v2
	v_add_f64 v[0:1], v[0:1], v[2:3]
	scratch_load_dwordx2 v[2:3], off, off offset:16 ; 8-byte Folded Reload
	s_waitcnt vmcnt(0)
	flat_load_dword v2, v[2:3] sc0 sc1
	s_waitcnt vmcnt(0) lgkmcnt(0)
	;; [unrolled: 6-line block ×5, first 2 shown]
	v_cvt_f64_f32_e32 v[2:3], v2
	v_add_f64 v[0:1], v[0:1], v[2:3]
	flat_load_dword v2, v[84:85] sc0 sc1
	s_waitcnt vmcnt(0) lgkmcnt(0)
	v_cvt_f64_f32_e32 v[2:3], v2
	v_add_f64 v[0:1], v[0:1], v[2:3]
	flat_load_dword v2, v[86:87] sc0 sc1
	s_waitcnt vmcnt(0) lgkmcnt(0)
	v_cvt_f64_f32_e32 v[2:3], v2
	v_add_f64 v[0:1], v[0:1], v[2:3]
	flat_load_dword v2, v[88:89] sc0 sc1
	s_waitcnt vmcnt(0) lgkmcnt(0)
	v_cvt_f64_f32_e32 v[2:3], v2
	v_add_f64 v[0:1], v[0:1], v[2:3]
	flat_load_dword v2, v[90:91] sc0 sc1
	s_waitcnt vmcnt(0) lgkmcnt(0)
	v_cvt_f64_f32_e32 v[2:3], v2
	v_add_f64 v[0:1], v[0:1], v[2:3]
	flat_load_dword v2, v[92:93] sc0 sc1
	s_waitcnt vmcnt(0) lgkmcnt(0)
	v_cvt_f64_f32_e32 v[2:3], v2
	v_add_f64 v[0:1], v[0:1], v[2:3]
	flat_load_dword v2, v[94:95] sc0 sc1
	s_waitcnt vmcnt(0) lgkmcnt(0)
	v_cvt_f64_f32_e32 v[2:3], v2
	v_add_f64 v[0:1], v[0:1], v[2:3]
	flat_load_dword v2, v[96:97] sc0 sc1
	s_waitcnt vmcnt(0) lgkmcnt(0)
	v_cvt_f64_f32_e32 v[2:3], v2
	v_add_f64 v[0:1], v[0:1], v[2:3]
	flat_load_dword v2, v[98:99] sc0 sc1
	s_waitcnt vmcnt(0) lgkmcnt(0)
	v_cvt_f64_f32_e32 v[2:3], v2
	v_add_f64 v[0:1], v[0:1], v[2:3]
	flat_load_dword v2, v[100:101] sc0 sc1
	s_waitcnt vmcnt(0) lgkmcnt(0)
	v_cvt_f64_f32_e32 v[2:3], v2
	v_add_f64 v[0:1], v[0:1], v[2:3]
	flat_load_dword v2, v[102:103] sc0 sc1
	s_waitcnt vmcnt(0) lgkmcnt(0)
	v_cvt_f64_f32_e32 v[2:3], v2
	v_add_f64 v[0:1], v[0:1], v[2:3]
	flat_load_dword v2, v[104:105] sc0 sc1
	s_waitcnt vmcnt(0) lgkmcnt(0)
	v_cvt_f64_f32_e32 v[2:3], v2
	v_add_f64 v[0:1], v[0:1], v[2:3]
	flat_load_dword v2, v[106:107] sc0 sc1
	s_waitcnt vmcnt(0) lgkmcnt(0)
	v_cvt_f64_f32_e32 v[2:3], v2
	v_add_f64 v[0:1], v[0:1], v[2:3]
	flat_load_dword v2, v[108:109] sc0 sc1
	s_waitcnt vmcnt(0) lgkmcnt(0)
	v_cvt_f64_f32_e32 v[2:3], v2
	v_add_f64 v[0:1], v[0:1], v[2:3]
	flat_load_dword v2, v[110:111] sc0 sc1
	s_waitcnt vmcnt(0) lgkmcnt(0)
	v_cvt_f64_f32_e32 v[2:3], v2
	v_add_f64 v[0:1], v[0:1], v[2:3]
	flat_load_dword v2, v[112:113] sc0 sc1
	s_waitcnt vmcnt(0) lgkmcnt(0)
	v_cvt_f64_f32_e32 v[2:3], v2
	v_add_f64 v[0:1], v[0:1], v[2:3]
	flat_load_dword v2, v[114:115] sc0 sc1
	s_waitcnt vmcnt(0) lgkmcnt(0)
	v_cvt_f64_f32_e32 v[2:3], v2
	v_add_f64 v[0:1], v[0:1], v[2:3]
	flat_load_dword v2, v[116:117] sc0 sc1
	s_waitcnt vmcnt(0) lgkmcnt(0)
	v_cvt_f64_f32_e32 v[2:3], v2
	v_add_f64 v[0:1], v[0:1], v[2:3]
	flat_load_dword v2, v[118:119] sc0 sc1
	s_waitcnt vmcnt(0) lgkmcnt(0)
	v_cvt_f64_f32_e32 v[2:3], v2
	v_add_f64 v[0:1], v[0:1], v[2:3]
	flat_load_dword v2, v[120:121] sc0 sc1
	s_waitcnt vmcnt(0) lgkmcnt(0)
	v_cvt_f64_f32_e32 v[2:3], v2
	v_add_f64 v[0:1], v[0:1], v[2:3]
	flat_load_dword v2, v[122:123] sc0 sc1
	s_waitcnt vmcnt(0) lgkmcnt(0)
	v_cvt_f64_f32_e32 v[2:3], v2
	v_add_f64 v[0:1], v[0:1], v[2:3]
	flat_load_dword v2, v[124:125] sc0 sc1
	s_waitcnt vmcnt(0) lgkmcnt(0)
	v_cvt_f64_f32_e32 v[2:3], v2
	v_add_f64 v[0:1], v[0:1], v[2:3]
	flat_load_dword v2, v[32:33] sc0 sc1
	s_waitcnt vmcnt(0) lgkmcnt(0)
	v_cvt_f64_f32_e32 v[2:3], v2
	v_add_f64 v[0:1], v[0:1], v[2:3]
	flat_load_dword v2, v[34:35] sc0 sc1
	s_waitcnt vmcnt(0) lgkmcnt(0)
	v_cvt_f64_f32_e32 v[2:3], v2
	v_add_f64 v[0:1], v[0:1], v[2:3]
	flat_load_dword v2, v[36:37] sc0 sc1
	s_waitcnt vmcnt(0) lgkmcnt(0)
	v_cvt_f64_f32_e32 v[2:3], v2
	v_add_f64 v[0:1], v[0:1], v[2:3]
	flat_load_dword v2, v[66:67] sc0 sc1
	s_waitcnt vmcnt(0) lgkmcnt(0)
	v_cvt_f64_f32_e32 v[2:3], v2
	v_add_f64 v[0:1], v[0:1], v[2:3]
	flat_load_dwordx2 v[2:3], v[56:57] sc0 sc1
	s_waitcnt vmcnt(0) lgkmcnt(0)
	v_add_f64 v[0:1], v[0:1], v[2:3]
	flat_store_dwordx2 v[56:57], v[0:1] sc0 sc1
	s_waitcnt vmcnt(0)
.LBB1_200:                              ;   in Loop: Header=BB1_19 Depth=1
	s_or_b64 exec, exec, s[0:1]
	v_cndmask_b32_e64 v0, 0, 1, s[18:19]
	v_cmp_ne_u32_e32 vcc, 0, v0
	s_and_saveexec_b64 s[0:1], s[14:15]
	s_cbranch_execz .LBB1_202
; %bb.201:                              ;   in Loop: Header=BB1_19 Depth=1
	flat_load_dword v0, v[58:59] sc0 sc1
	s_waitcnt vmcnt(0)
	s_bcnt1_i32_b32 s2, vcc_lo
	s_waitcnt lgkmcnt(0)
	v_add_u32_e32 v0, s2, v0
	flat_store_dword v[58:59], v0 sc0 sc1
	s_waitcnt vmcnt(0)
	flat_load_dword v0, v[50:51] sc0 sc1
	s_waitcnt vmcnt(0) lgkmcnt(0)
	v_add_u32_e32 v0, 1, v0
	flat_store_dword v[50:51], v0 sc0 sc1
	s_waitcnt vmcnt(0)
.LBB1_202:                              ;   in Loop: Header=BB1_19 Depth=1
	s_or_b64 exec, exec, s[0:1]
.LBB1_203:                              ;   in Loop: Header=BB1_19 Depth=1
	s_or_b64 s[10:11], s[16:17], s[18:19]
	v_cndmask_b32_e64 v0, 0, 1, s[10:11]
	v_cmp_ne_u32_e32 vcc, 0, v0
	s_cmp_eq_u64 vcc, exec
	s_cbranch_scc1 .LBB1_283
; %bb.204:                              ;   in Loop: Header=BB1_19 Depth=1
	v_mov_b32_e32 v0, 1
	v_cmp_eq_u16_sdwa s[0:1], v23, v0 src0_sel:BYTE_0 src1_sel:DWORD
	s_mov_b64 vcc, s[0:1]
	s_cbranch_vccz .LBB1_257
; %bb.205:                              ;   in Loop: Header=BB1_19 Depth=1
	s_and_saveexec_b64 s[16:17], s[0:1]
	s_cbranch_execz .LBB1_254
; %bb.206:                              ;   in Loop: Header=BB1_19 Depth=1
	v_cmp_eq_u16_sdwa s[2:3], v76, v41 src0_sel:BYTE_0 src1_sel:DWORD
	v_cmp_eq_u32_e32 vcc, 0, v70
	s_and_b64 s[2:3], s[2:3], vcc
	v_cmp_neq_f32_e32 vcc, 0, v64
	s_and_b64 s[2:3], s[2:3], vcc
	s_and_saveexec_b64 s[18:19], s[2:3]
	s_cbranch_execz .LBB1_253
; %bb.207:                              ;   in Loop: Header=BB1_19 Depth=1
	v_readlane_b32 s4, v127, 19
	v_readlane_b32 s6, v127, 21
	;; [unrolled: 1-line block ×4, first 2 shown]
	v_sub_f32_e32 v0, s6, v25
	v_div_scale_f32 v1, s[2:3], v64, v64, v0
	v_rcp_f32_e32 v2, v1
	v_div_scale_f32 v3, vcc, v0, v64, v0
	v_fma_f32 v4, -v1, v2, 1.0
	v_fmac_f32_e32 v2, v4, v2
	v_mul_f32_e32 v4, v3, v2
	v_fma_f32 v5, -v1, v4, v3
	v_fmac_f32_e32 v4, v5, v2
	v_fma_f32 v1, -v1, v4, v3
	v_div_fmas_f32 v1, v1, v2, v4
	v_div_fixup_f32 v1, v1, v64, v0
	v_cmp_ngt_f32_e32 vcc, 0, v1
	s_and_saveexec_b64 s[30:31], vcc
	s_cbranch_execz .LBB1_252
; %bb.208:                              ;   in Loop: Header=BB1_19 Depth=1
	v_fma_f32 v0, v26, v1, v54
	v_readlane_b32 s4, v127, 19
	v_readlane_b32 s5, v127, 20
	;; [unrolled: 1-line block ×3, first 2 shown]
	v_subrev_f32_e32 v0, s4, v0
	v_div_scale_f32 v2, s[2:3], s52, s52, v0
	v_rcp_f32_e32 v3, v2
	v_div_scale_f32 v4, vcc, v0, s52, v0
	v_readlane_b32 s7, v127, 22
	v_fma_f32 v5, -v2, v3, 1.0
	v_fmac_f32_e32 v3, v5, v3
	v_mul_f32_e32 v5, v4, v3
	v_fma_f32 v6, -v2, v5, v4
	v_fmac_f32_e32 v5, v6, v3
	v_fma_f32 v2, -v2, v5, v4
	v_div_fmas_f32 v2, v2, v3, v5
	v_div_fixup_f32 v0, v2, s52, v0
	scratch_load_dword v2, off, off offset:96 ; 4-byte Folded Reload
	s_waitcnt vmcnt(0)
	v_add_f32_e32 v3, v0, v2
	v_floor_f32_e32 v2, v3
	v_sub_u32_e32 v4, 0x80000000, v3
	v_cmp_gt_i32_e32 vcc, 0, v3
	v_sub_u32_e32 v0, 0x80000000, v2
	s_nop 0
	v_cndmask_b32_e32 v4, v3, v4, vcc
	v_cmp_gt_i32_e32 vcc, 0, v2
	s_nop 1
	v_cndmask_b32_e32 v0, v2, v0, vcc
	v_sub_u32_e32 v0, v4, v0
	v_sub_u32_e32 v5, 0, v0
	v_max_i32_e32 v0, v0, v5
	v_cmp_lt_u32_e32 vcc, 20, v0
	v_mov_b32_e32 v0, 1
	s_and_saveexec_b64 s[2:3], vcc
	s_cbranch_execz .LBB1_210
; %bb.209:                              ;   in Loop: Header=BB1_19 Depth=1
	v_ceil_f32_e32 v0, v3
	v_sub_u32_e32 v3, 0x80000000, v0
	v_cmp_gt_i32_e32 vcc, 0, v0
	s_nop 1
	v_cndmask_b32_e32 v3, v0, v3, vcc
	v_sub_u32_e32 v3, v4, v3
	v_sub_u32_e32 v4, 0, v3
	v_max_i32_e32 v3, v3, v4
	v_cmp_gt_u32_e32 vcc, 21, v3
	s_nop 1
	v_cndmask_b32_e32 v2, v2, v0, vcc
	v_cndmask_b32_e64 v0, 0, 1, vcc
.LBB1_210:                              ;   in Loop: Header=BB1_19 Depth=1
	s_or_b64 exec, exec, s[2:3]
	v_readlane_b32 s4, v127, 19
	v_fma_f32 v1, v27, v1, v55
	v_readlane_b32 s5, v127, 20
	v_readlane_b32 s6, v127, 21
	;; [unrolled: 1-line block ×3, first 2 shown]
	v_subrev_f32_e32 v1, s5, v1
	v_div_scale_f32 v3, s[2:3], s53, s53, v1
	v_rcp_f32_e32 v4, v3
	v_div_scale_f32 v5, vcc, v1, s53, v1
	v_fma_f32 v6, -v3, v4, 1.0
	v_fmac_f32_e32 v4, v6, v4
	v_mul_f32_e32 v6, v5, v4
	v_fma_f32 v7, -v3, v6, v5
	v_fmac_f32_e32 v6, v7, v4
	v_fma_f32 v3, -v3, v6, v5
	v_div_fmas_f32 v3, v3, v4, v6
	v_div_fixup_f32 v1, v3, s53, v1
	scratch_load_dword v3, off, off offset:100 ; 4-byte Folded Reload
	s_waitcnt vmcnt(0)
	v_add_f32_e32 v1, v1, v3
	v_floor_f32_e32 v4, v1
	v_sub_u32_e32 v5, 0x80000000, v1
	v_cmp_gt_i32_e32 vcc, 0, v1
	v_sub_u32_e32 v3, 0x80000000, v4
	s_nop 0
	v_cndmask_b32_e32 v5, v1, v5, vcc
	v_cmp_gt_i32_e32 vcc, 0, v4
	s_nop 1
	v_cndmask_b32_e32 v3, v4, v3, vcc
	v_sub_u32_e32 v3, v5, v3
	v_sub_u32_e32 v6, 0, v3
	v_max_i32_e32 v3, v3, v6
	v_cmp_lt_u32_e32 vcc, 20, v3
	v_or_b32_e32 v3, 2, v0
	s_and_saveexec_b64 s[2:3], vcc
	s_xor_b64 s[2:3], exec, s[2:3]
	s_cbranch_execz .LBB1_212
; %bb.211:                              ;   in Loop: Header=BB1_19 Depth=1
	v_ceil_f32_e32 v1, v1
	v_sub_u32_e32 v3, 0x80000000, v1
	v_cmp_gt_i32_e32 vcc, 0, v1
	s_nop 1
	v_cndmask_b32_e32 v3, v1, v3, vcc
	v_sub_u32_e32 v3, v5, v3
	v_sub_u32_e32 v5, 0, v3
	v_max_i32_e32 v3, v3, v5
	v_or_b32_e32 v5, 2, v0
	v_cmp_gt_u32_e32 vcc, 21, v3
	s_nop 1
	v_cndmask_b32_e32 v4, v4, v1, vcc
	v_cndmask_b32_e32 v3, v0, v5, vcc
.LBB1_212:                              ;   in Loop: Header=BB1_19 Depth=1
	s_andn2_saveexec_b64 s[2:3], s[2:3]
	s_or_b64 exec, exec, s[2:3]
	v_cmp_lt_i32_e32 vcc, 0, v22
	s_mov_b64 s[4:5], 0
                                        ; implicit-def: $vgpr0_vgpr1
	s_and_saveexec_b64 s[2:3], vcc
	s_xor_b64 s[2:3], exec, s[2:3]
	s_cbranch_execz .LBB1_337
; %bb.213:                              ;   in Loop: Header=BB1_19 Depth=1
	s_mov_b32 s4, 0xffff
	v_cmp_lt_i32_e32 vcc, s4, v22
	s_mov_b64 s[4:5], 0
	s_and_saveexec_b64 s[6:7], vcc
	s_xor_b64 s[6:7], exec, s[6:7]
	s_cbranch_execz .LBB1_217
; %bb.214:                              ;   in Loop: Header=BB1_19 Depth=1
	s_mov_b32 s4, 0x10000
	v_cmp_eq_u32_e32 vcc, s4, v22
	s_mov_b64 s[4:5], -1
	s_and_saveexec_b64 s[8:9], vcc
; %bb.215:                              ;   in Loop: Header=BB1_19 Depth=1
	s_xor_b64 s[4:5], exec, -1
; %bb.216:                              ;   in Loop: Header=BB1_19 Depth=1
	s_or_b64 exec, exec, s[8:9]
	s_and_b64 s[4:5], s[4:5], exec
.LBB1_217:                              ;   in Loop: Header=BB1_19 Depth=1
	s_or_saveexec_b64 s[6:7], s[6:7]
	v_mov_b64_e32 v[0:1], 2
	s_xor_b64 exec, exec, s[6:7]
	s_cbranch_execz .LBB1_221
; %bb.218:                              ;   in Loop: Header=BB1_19 Depth=1
	v_cmp_eq_u32_e32 vcc, 1, v22
	s_mov_b64 s[8:9], -1
	s_and_saveexec_b64 s[70:71], vcc
; %bb.219:                              ;   in Loop: Header=BB1_19 Depth=1
	s_xor_b64 s[8:9], exec, -1
; %bb.220:                              ;   in Loop: Header=BB1_19 Depth=1
	s_or_b64 exec, exec, s[70:71]
	s_andn2_b64 s[4:5], s[4:5], exec
	s_and_b64 s[8:9], s[8:9], exec
	v_mov_b64_e32 v[0:1], 1
	s_or_b64 s[4:5], s[4:5], s[8:9]
.LBB1_221:                              ;   in Loop: Header=BB1_19 Depth=1
	s_or_b64 exec, exec, s[6:7]
	s_and_b64 s[4:5], s[4:5], exec
	s_andn2_saveexec_b64 s[2:3], s[2:3]
	s_cbranch_execnz .LBB1_338
.LBB1_222:                              ;   in Loop: Header=BB1_19 Depth=1
	s_or_b64 exec, exec, s[2:3]
	s_and_saveexec_b64 s[2:3], s[4:5]
.LBB1_223:                              ;   in Loop: Header=BB1_19 Depth=1
	v_mov_b64_e32 v[0:1], 3
.LBB1_224:                              ;   in Loop: Header=BB1_19 Depth=1
	s_or_b64 exec, exec, s[2:3]
	v_cvt_i32_f32_e32 v5, v4
	v_cvt_i32_f32_e32 v4, v2
	v_cmp_lt_i32_e32 vcc, 1, v3
	s_mov_b64 s[6:7], 0
                                        ; implicit-def: $vgpr2
                                        ; implicit-def: $vgpr6
	s_and_saveexec_b64 s[2:3], vcc
	s_xor_b64 s[78:79], exec, s[2:3]
	s_cbranch_execz .LBB1_339
; %bb.225:                              ;   in Loop: Header=BB1_19 Depth=1
	v_cmp_lt_i32_e32 vcc, 2, v3
	s_mov_b64 s[4:5], 0
                                        ; implicit-def: $vgpr2
                                        ; implicit-def: $vgpr6
	s_and_saveexec_b64 s[2:3], vcc
	s_xor_b64 s[80:81], exec, s[2:3]
	s_cbranch_execz .LBB1_240
; %bb.226:                              ;   in Loop: Header=BB1_19 Depth=1
	v_mul_f32_e32 v3, 0x3e800000, v69
	v_mul_f32_e32 v2, v3, v68
	v_cmp_lt_i32_e32 vcc, -1, v4
	s_and_saveexec_b64 s[6:7], vcc
	s_cbranch_execz .LBB1_229
; %bb.227:                              ;   in Loop: Header=BB1_19 Depth=1
	v_cmp_gt_i32_e64 s[2:3], s54, v4
	v_cmp_lt_i32_e64 s[4:5], -1, v5
	s_and_b64 s[4:5], s[2:3], s[4:5]
	v_cmp_gt_i32_e64 s[2:3], s55, v5
	s_and_b64 s[2:3], s[4:5], s[2:3]
	s_and_b64 exec, exec, s[2:3]
	s_cbranch_execz .LBB1_229
; %bb.228:                              ;   in Loop: Header=BB1_19 Depth=1
	v_lshlrev_b64 v[6:7], 3, v[0:1]
	v_lshl_add_u64 v[8:9], s[56:57], 0, v[6:7]
	global_load_dwordx2 v[8:9], v[8:9], off
	v_mad_u64_u32 v[10:11], s[2:3], s54, v5, v[4:5]
	v_mov_b32_e32 v11, v41
	v_lshlrev_b64 v[10:11], 2, v[10:11]
	v_lshl_add_u64 v[6:7], s[58:59], 0, v[6:7]
	s_waitcnt vmcnt(0)
	v_lshl_add_u64 v[8:9], v[8:9], 0, v[10:11]
	global_atomic_add_f32 v[8:9], v3, off
	global_load_dwordx2 v[6:7], v[6:7], off
	s_waitcnt vmcnt(0)
	v_lshl_add_u64 v[6:7], v[6:7], 0, v[10:11]
	global_atomic_add_f32 v[6:7], v2, off
.LBB1_229:                              ;   in Loop: Header=BB1_19 Depth=1
	s_or_b64 exec, exec, s[6:7]
	v_add_u32_e32 v8, -1, v4
	v_cmp_lt_i32_e64 s[2:3], 0, v4
	s_and_saveexec_b64 s[70:71], s[2:3]
	s_cbranch_execz .LBB1_232
; %bb.230:                              ;   in Loop: Header=BB1_19 Depth=1
	v_cmp_lt_i32_e64 s[6:7], -1, v5
	v_cmp_gt_i32_e64 s[8:9], s55, v5
	v_cmp_ge_i32_e64 s[4:5], s54, v4
	s_and_b64 s[6:7], s[6:7], s[8:9]
	s_and_b64 s[4:5], s[6:7], s[4:5]
	s_and_b64 exec, exec, s[4:5]
	s_cbranch_execz .LBB1_232
; %bb.231:                              ;   in Loop: Header=BB1_19 Depth=1
	v_lshlrev_b64 v[6:7], 3, v[0:1]
	v_lshl_add_u64 v[10:11], s[56:57], 0, v[6:7]
	global_load_dwordx2 v[10:11], v[10:11], off
	v_mad_u64_u32 v[12:13], s[4:5], s54, v5, v[8:9]
	v_mov_b32_e32 v13, v41
	v_lshlrev_b64 v[12:13], 2, v[12:13]
	v_lshl_add_u64 v[6:7], s[58:59], 0, v[6:7]
	s_waitcnt vmcnt(0)
	v_lshl_add_u64 v[10:11], v[10:11], 0, v[12:13]
	global_atomic_add_f32 v[10:11], v3, off
	global_load_dwordx2 v[6:7], v[6:7], off
	s_waitcnt vmcnt(0)
	v_lshl_add_u64 v[6:7], v[6:7], 0, v[12:13]
	global_atomic_add_f32 v[6:7], v2, off
.LBB1_232:                              ;   in Loop: Header=BB1_19 Depth=1
	s_or_b64 exec, exec, s[70:71]
	v_add_u32_e32 v7, -1, v5
	s_and_saveexec_b64 s[6:7], vcc
	s_cbranch_execz .LBB1_235
; %bb.233:                              ;   in Loop: Header=BB1_19 Depth=1
	v_cmp_gt_i32_e32 vcc, s54, v4
	v_cmp_lt_i32_e64 s[4:5], 0, v5
	s_and_b64 s[4:5], vcc, s[4:5]
	v_cmp_ge_i32_e32 vcc, s55, v5
	s_and_b64 s[4:5], s[4:5], vcc
	s_and_b64 exec, exec, s[4:5]
	s_cbranch_execz .LBB1_235
; %bb.234:                              ;   in Loop: Header=BB1_19 Depth=1
	v_lshlrev_b64 v[10:11], 3, v[0:1]
	v_lshl_add_u64 v[12:13], s[56:57], 0, v[10:11]
	global_load_dwordx2 v[12:13], v[12:13], off
	v_mad_u64_u32 v[14:15], s[4:5], v7, s54, v[4:5]
	v_mov_b32_e32 v15, v41
	v_lshlrev_b64 v[14:15], 2, v[14:15]
	v_lshl_add_u64 v[10:11], s[58:59], 0, v[10:11]
	s_waitcnt vmcnt(0)
	v_lshl_add_u64 v[12:13], v[12:13], 0, v[14:15]
	global_atomic_add_f32 v[12:13], v3, off
	global_load_dwordx2 v[10:11], v[10:11], off
	s_waitcnt vmcnt(0)
	v_lshl_add_u64 v[10:11], v[10:11], 0, v[14:15]
	global_atomic_add_f32 v[10:11], v2, off
.LBB1_235:                              ;   in Loop: Header=BB1_19 Depth=1
	s_or_b64 exec, exec, s[6:7]
	s_mov_b64 s[4:5], 0
                                        ; implicit-def: $vgpr6
	s_and_saveexec_b64 s[6:7], s[2:3]
	s_cbranch_execz .LBB1_239
; %bb.236:                              ;   in Loop: Header=BB1_19 Depth=1
	v_cmp_ge_i32_e32 vcc, s54, v4
	v_cmp_ge_i32_e64 s[4:5], s55, v5
	v_cmp_lt_i32_e64 s[2:3], 0, v5
	s_and_b64 s[4:5], vcc, s[4:5]
	s_and_b64 s[4:5], s[4:5], s[2:3]
	s_mov_b64 s[2:3], 0
                                        ; implicit-def: $vgpr6
	s_and_saveexec_b64 s[8:9], s[4:5]
	s_xor_b64 s[4:5], exec, s[8:9]
; %bb.237:                              ;   in Loop: Header=BB1_19 Depth=1
	v_mad_u64_u32 v[6:7], s[2:3], v7, s54, v[8:9]
	s_mov_b64 s[2:3], exec
; %bb.238:                              ;   in Loop: Header=BB1_19 Depth=1
	s_or_b64 exec, exec, s[4:5]
	s_and_b64 s[4:5], s[2:3], exec
.LBB1_239:                              ;   in Loop: Header=BB1_19 Depth=1
	s_or_b64 exec, exec, s[6:7]
	s_and_b64 s[4:5], s[4:5], exec
	v_mov_b64_e32 v[68:69], v[2:3]
                                        ; implicit-def: $vgpr4
                                        ; implicit-def: $vgpr5
.LBB1_240:                              ;   in Loop: Header=BB1_19 Depth=1
	s_andn2_saveexec_b64 s[6:7], s[80:81]
	s_cbranch_execz .LBB1_248
; %bb.241:                              ;   in Loop: Header=BB1_19 Depth=1
	v_mul_f32_e32 v3, 0.5, v69
	v_mul_f32_e32 v2, v3, v68
	v_cmp_lt_i32_e32 vcc, -1, v4
	s_mov_b64 s[2:3], s[4:5]
                                        ; implicit-def: $vgpr6
	s_and_saveexec_b64 s[8:9], vcc
	s_cbranch_execz .LBB1_247
; %bb.242:                              ;   in Loop: Header=BB1_19 Depth=1
	v_cmp_gt_i32_e32 vcc, s54, v4
	v_cmp_lt_i32_e64 s[2:3], -1, v5
	s_and_b64 s[70:71], vcc, s[2:3]
	v_cmp_gt_i32_e64 s[2:3], s55, v5
	s_and_b64 s[70:71], s[70:71], s[2:3]
	s_and_saveexec_b64 s[2:3], s[70:71]
	s_cbranch_execz .LBB1_244
; %bb.243:                              ;   in Loop: Header=BB1_19 Depth=1
	v_lshlrev_b64 v[6:7], 3, v[0:1]
	v_lshl_add_u64 v[8:9], s[56:57], 0, v[6:7]
	global_load_dwordx2 v[8:9], v[8:9], off
	v_mad_u64_u32 v[10:11], s[70:71], s54, v5, v[4:5]
	v_mov_b32_e32 v11, v41
	v_lshlrev_b64 v[10:11], 2, v[10:11]
	v_lshl_add_u64 v[6:7], s[58:59], 0, v[6:7]
	s_waitcnt vmcnt(0)
	v_lshl_add_u64 v[8:9], v[8:9], 0, v[10:11]
	global_atomic_add_f32 v[8:9], v3, off
	global_load_dwordx2 v[6:7], v[6:7], off
	s_waitcnt vmcnt(0)
	v_lshl_add_u64 v[6:7], v[6:7], 0, v[10:11]
	global_atomic_add_f32 v[6:7], v2, off
.LBB1_244:                              ;   in Loop: Header=BB1_19 Depth=1
	s_or_b64 exec, exec, s[2:3]
	v_cmp_lt_i32_e64 s[2:3], 0, v5
	s_and_b64 s[2:3], vcc, s[2:3]
	v_cmp_ge_i32_e32 vcc, s55, v5
	s_and_b64 s[70:71], s[2:3], vcc
	s_mov_b64 s[2:3], s[4:5]
                                        ; implicit-def: $vgpr6
	s_and_saveexec_b64 s[80:81], s[70:71]
	s_xor_b64 s[70:71], exec, s[80:81]
; %bb.245:                              ;   in Loop: Header=BB1_19 Depth=1
	v_add_u32_e32 v5, -1, v5
	v_mad_u64_u32 v[6:7], s[2:3], v5, s54, v[4:5]
	s_or_b64 s[2:3], s[4:5], exec
; %bb.246:                              ;   in Loop: Header=BB1_19 Depth=1
	s_or_b64 exec, exec, s[70:71]
	s_andn2_b64 s[70:71], s[4:5], exec
	s_and_b64 s[2:3], s[2:3], exec
	s_or_b64 s[2:3], s[70:71], s[2:3]
.LBB1_247:                              ;   in Loop: Header=BB1_19 Depth=1
	s_or_b64 exec, exec, s[8:9]
	s_andn2_b64 s[4:5], s[4:5], exec
	s_and_b64 s[2:3], s[2:3], exec
	s_or_b64 s[4:5], s[4:5], s[2:3]
	v_mov_b64_e32 v[68:69], v[2:3]
.LBB1_248:                              ;   in Loop: Header=BB1_19 Depth=1
	s_or_b64 exec, exec, s[6:7]
	s_and_b64 s[6:7], s[4:5], exec
                                        ; implicit-def: $vgpr3
                                        ; implicit-def: $vgpr4
                                        ; implicit-def: $vgpr5
	s_andn2_saveexec_b64 s[8:9], s[78:79]
	s_cbranch_execnz .LBB1_340
.LBB1_249:                              ;   in Loop: Header=BB1_19 Depth=1
	s_or_b64 exec, exec, s[8:9]
	s_and_saveexec_b64 s[2:3], s[6:7]
	s_cbranch_execz .LBB1_251
.LBB1_250:                              ;   in Loop: Header=BB1_19 Depth=1
	v_lshlrev_b64 v[0:1], 3, v[0:1]
	v_lshl_add_u64 v[4:5], s[56:57], 0, v[0:1]
	global_load_dwordx2 v[4:5], v[4:5], off
	v_mov_b32_e32 v7, v41
	v_lshlrev_b64 v[6:7], 2, v[6:7]
	v_lshl_add_u64 v[0:1], s[58:59], 0, v[0:1]
	s_waitcnt vmcnt(0)
	v_lshl_add_u64 v[4:5], v[4:5], 0, v[6:7]
	global_atomic_add_f32 v[4:5], v69, off
	global_load_dwordx2 v[0:1], v[0:1], off
	s_waitcnt vmcnt(0)
	v_lshl_add_u64 v[0:1], v[0:1], 0, v[6:7]
	global_atomic_add_f32 v[0:1], v2, off
.LBB1_251:                              ;   in Loop: Header=BB1_19 Depth=1
	s_or_b64 exec, exec, s[2:3]
.LBB1_252:                              ;   in Loop: Header=BB1_19 Depth=1
	s_or_b64 exec, exec, s[30:31]
.LBB1_253:                              ;   in Loop: Header=BB1_19 Depth=1
	s_or_b64 exec, exec, s[18:19]
	v_mov_b32_e32 v23, 8
.LBB1_254:                              ;   in Loop: Header=BB1_19 Depth=1
	s_or_b64 exec, exec, s[16:17]
	v_cndmask_b32_e64 v0, 0, 1, s[0:1]
	v_cmp_ne_u32_e32 vcc, 0, v0
	s_and_saveexec_b64 s[2:3], s[14:15]
	s_cbranch_execz .LBB1_256
; %bb.255:                              ;   in Loop: Header=BB1_19 Depth=1
	scratch_load_dwordx2 v[2:3], off, off offset:56 ; 8-byte Folded Reload
	s_bcnt1_i32_b32 s4, vcc_lo
	s_waitcnt vmcnt(0)
	flat_load_dword v0, v[2:3] sc0 sc1
	s_waitcnt vmcnt(0) lgkmcnt(0)
	v_add_u32_e32 v0, s4, v0
	flat_store_dword v[2:3], v0 sc0 sc1
	s_waitcnt vmcnt(0)
	flat_load_dword v0, v[50:51] sc0 sc1
	s_waitcnt vmcnt(0) lgkmcnt(0)
	v_add_u32_e32 v0, 1, v0
	flat_store_dword v[50:51], v0 sc0 sc1
	s_waitcnt vmcnt(0)
.LBB1_256:                              ;   in Loop: Header=BB1_19 Depth=1
	s_or_b64 exec, exec, s[2:3]
.LBB1_257:                              ;   in Loop: Header=BB1_19 Depth=1
	s_or_b64 s[78:79], s[10:11], s[0:1]
	v_cndmask_b32_e64 v0, 0, 1, s[78:79]
	v_cmp_ne_u32_e32 vcc, 0, v0
	s_cmp_eq_u64 vcc, exec
	s_cbranch_scc1 .LBB1_284
; %bb.258:                              ;   in Loop: Header=BB1_19 Depth=1
	v_mov_b32_e32 v0, 4
	v_cmp_eq_u16_sdwa s[16:17], v23, v0 src0_sel:BYTE_0 src1_sel:DWORD
	s_mov_b64 vcc, s[16:17]
	s_cbranch_vccz .LBB1_298
; %bb.259:                              ;   in Loop: Header=BB1_19 Depth=1
	v_div_scale_f32 v0, s[0:1], s96, s96, v68
	v_rcp_f32_e32 v1, v0
	v_div_scale_f32 v2, vcc, v68, s96, v68
	s_xor_b64 s[80:81], s[16:17], -1
	v_fma_f32 v3, -v0, v1, 1.0
	v_fmac_f32_e32 v1, v3, v1
	v_mul_f32_e32 v3, v2, v1
	v_fma_f32 v4, -v0, v3, v2
	v_fmac_f32_e32 v3, v4, v1
	v_fma_f32 v0, -v0, v3, v2
	v_div_fmas_f32 v0, v0, v1, v3
	v_div_fixup_f32 v24, v0, s96, v68
	v_fma_f32 v0, v24, 2.0, 1.0
	v_div_scale_f32 v1, s[0:1], v0, v0, 1.0
	v_rcp_f32_e32 v2, v1
	v_cmp_nlt_f32_e64 s[18:19], 2.0, v24
	v_mov_b32_e32 v29, 0
	v_mul_f32_e32 v65, v0, v0
	v_fma_f32 v3, -v1, v2, 1.0
	v_fmac_f32_e32 v2, v3, v2
	v_div_scale_f32 v3, vcc, 1.0, v0, 1.0
	v_mul_f32_e32 v4, v3, v2
	v_fma_f32 v5, -v1, v4, v3
	v_fmac_f32_e32 v4, v5, v2
	v_fma_f32 v1, -v1, v4, v3
	v_div_fmas_f32 v1, v1, v2, v4
	v_cmp_gt_f32_e32 vcc, s39, v0
	v_div_fixup_f32 v30, v1, v0, 1.0
	v_add_f32_e32 v40, v0, v30
	v_cndmask_b32_e64 v1, 0, 32, vcc
	v_ldexp_f32 v1, v0, v1
	v_log_f32_e32 v1, v1
	v_mov_b32_e32 v71, 0
	v_mov_b32_e32 v61, 0
	v_mul_f32_e32 v2, 0x3f317217, v1
	v_fma_f32 v2, v1, s47, -v2
	v_fmac_f32_e32 v2, 0x3377d1cf, v1
	v_fmac_f32_e32 v2, 0x3f317217, v1
	v_cmp_lt_f32_e64 s[0:1], |v1|, s51
	s_nop 1
	v_cndmask_b32_e64 v1, v1, v2, s[0:1]
	v_cndmask_b32_e32 v2, 0, v80, vcc
	v_sub_f32_e32 v62, v1, v2
	v_add_f32_e32 v1, 1.0, v0
	v_mul_f32_e32 v1, v24, v1
	v_mul_f32_e32 v1, v30, v1
	v_fma_f32 v63, v30, v1, v62
	s_branch .LBB1_263
.LBB1_260:                              ;   in Loop: Header=BB1_263 Depth=2
	s_or_b64 exec, exec, s[0:1]
	v_mul_f32_e32 v29, v30, v0
	v_fma_f32 v0, -v30, v0, 1.0
	v_mul_f32_e32 v1, v24, v29
	v_div_scale_f32 v2, s[0:1], v1, v1, v0
	v_rcp_f32_e32 v3, v2
	v_fma_f32 v28, v29, v29, 1.0
	s_andn2_b64 s[0:1], s[4:5], exec
	v_fma_f32 v4, -v2, v3, 1.0
	v_fmac_f32_e32 v3, v4, v3
	v_div_scale_f32 v4, vcc, v0, v1, v0
	v_mul_f32_e32 v5, v4, v3
	v_fma_f32 v6, -v2, v5, v4
	v_fmac_f32_e32 v5, v6, v3
	v_fma_f32 v2, -v2, v5, v4
	v_div_fmas_f32 v2, v2, v3, v5
	v_div_fixup_f32 v71, v2, v1, v0
	v_sub_f32_e32 v0, 2.0, v71
	v_mul_f32_e32 v0, v71, v0
	v_max_f32_e32 v61, 0, v0
	s_waitcnt lgkmcnt(0)
	v_pk_mul_f32 v[0:1], v[60:61], v[28:29]
	s_nop 0
	v_sub_f32_e32 v1, v28, v1
	v_cmp_lt_f32_e32 vcc, v0, v1
	s_and_b64 s[4:5], vcc, exec
	s_or_b64 s[4:5], s[0:1], s[4:5]
.LBB1_261:                              ;   in Loop: Header=BB1_263 Depth=2
	s_or_b64 exec, exec, s[6:7]
	s_orn2_b64 s[80:81], s[4:5], exec
.LBB1_262:                              ;   in Loop: Header=BB1_263 Depth=2
	s_or_b64 exec, exec, s[2:3]
	v_cndmask_b32_e64 v0, 0, 1, s[80:81]
	v_cmp_ne_u32_e32 vcc, 0, v0
	s_cmp_lg_u64 vcc, exec
	s_cbranch_scc0 .LBB1_285
.LBB1_263:                              ;   Parent Loop BB1_19 Depth=1
                                        ; =>  This Inner Loop Header: Depth=2
	flat_load_ubyte v0, v[46:47] sc0 sc1
	s_waitcnt vmcnt(0) lgkmcnt(0)
	v_cmp_lt_u32_e32 vcc, 1, v0
	v_add_u32_e32 v0, 1, v0
	s_and_saveexec_b64 s[70:71], vcc
	s_cbranch_execz .LBB1_265
; %bb.264:                              ;   in Loop: Header=BB1_263 Depth=2
	s_add_u32 s8, s12, 8
	s_addc_u32 s9, s13, 0
	s_getpc_b64 s[0:1]
	s_add_u32 s0, s0, _Z17MT_generate_arrayv@rel32@lo+4
	s_addc_u32 s1, s1, _Z17MT_generate_arrayv@rel32@hi+12
	s_swappc_b64 s[30:31], s[0:1]
	v_mov_b32_e32 v0, 0
.LBB1_265:                              ;   in Loop: Header=BB1_263 Depth=2
	s_or_b64 exec, exec, s[70:71]
	s_and_saveexec_b64 s[0:1], s[14:15]
	s_cbranch_execz .LBB1_267
; %bb.266:                              ;   in Loop: Header=BB1_263 Depth=2
	flat_store_byte v[46:47], v0 sc0 sc1
	s_waitcnt vmcnt(0)
.LBB1_267:                              ;   in Loop: Header=BB1_263 Depth=2
	s_or_b64 exec, exec, s[0:1]
	v_lshl_add_u32 v0, v0, 7, v75
	ds_read_b32 v82, v0
	flat_load_ubyte v0, v[46:47] sc0 sc1
	s_waitcnt vmcnt(0) lgkmcnt(0)
	v_cmp_lt_u32_e32 vcc, 1, v0
	v_add_u32_e32 v0, 1, v0
	s_and_saveexec_b64 s[70:71], vcc
	s_cbranch_execz .LBB1_269
; %bb.268:                              ;   in Loop: Header=BB1_263 Depth=2
	s_add_u32 s8, s12, 8
	s_addc_u32 s9, s13, 0
	s_getpc_b64 s[0:1]
	s_add_u32 s0, s0, _Z17MT_generate_arrayv@rel32@lo+4
	s_addc_u32 s1, s1, _Z17MT_generate_arrayv@rel32@hi+12
	s_swappc_b64 s[30:31], s[0:1]
	v_mov_b32_e32 v0, 0
.LBB1_269:                              ;   in Loop: Header=BB1_263 Depth=2
	s_or_b64 exec, exec, s[70:71]
	s_and_saveexec_b64 s[0:1], s[14:15]
	s_cbranch_execz .LBB1_271
; %bb.270:                              ;   in Loop: Header=BB1_263 Depth=2
	flat_store_byte v[46:47], v0 sc0 sc1
	s_waitcnt vmcnt(0)
.LBB1_271:                              ;   in Loop: Header=BB1_263 Depth=2
	s_or_b64 exec, exec, s[0:1]
	v_lshl_add_u32 v0, v0, 7, v75
	ds_read_b32 v28, v0
	flat_load_ubyte v0, v[46:47] sc0 sc1
	s_waitcnt vmcnt(0) lgkmcnt(0)
	v_cmp_lt_u32_e32 vcc, 1, v0
	v_add_u32_e32 v0, 1, v0
	s_and_saveexec_b64 s[70:71], vcc
	s_cbranch_execz .LBB1_273
; %bb.272:                              ;   in Loop: Header=BB1_263 Depth=2
	s_add_u32 s8, s12, 8
	s_addc_u32 s9, s13, 0
	s_getpc_b64 s[0:1]
	s_add_u32 s0, s0, _Z17MT_generate_arrayv@rel32@lo+4
	s_addc_u32 s1, s1, _Z17MT_generate_arrayv@rel32@hi+12
	s_swappc_b64 s[30:31], s[0:1]
	v_mov_b32_e32 v0, 0
.LBB1_273:                              ;   in Loop: Header=BB1_263 Depth=2
	s_or_b64 exec, exec, s[70:71]
	s_and_saveexec_b64 s[0:1], s[14:15]
	s_cbranch_execz .LBB1_275
; %bb.274:                              ;   in Loop: Header=BB1_263 Depth=2
	flat_store_byte v[46:47], v0 sc0 sc1
	s_waitcnt vmcnt(0)
.LBB1_275:                              ;   in Loop: Header=BB1_263 Depth=2
	s_or_b64 exec, exec, s[0:1]
	s_xor_b64 s[0:1], s[80:81], -1
	s_mov_b64 s[80:81], -1
	s_and_saveexec_b64 s[2:3], s[0:1]
	s_cbranch_execz .LBB1_262
; %bb.276:                              ;   in Loop: Header=BB1_263 Depth=2
                                        ; implicit-def: $sgpr4_sgpr5
                                        ; implicit-def: $vgpr61
                                        ; implicit-def: $vgpr71
                                        ; implicit-def: $vgpr29
	s_and_saveexec_b64 s[0:1], s[18:19]
	s_xor_b64 s[0:1], exec, s[0:1]
	s_cbranch_execz .LBB1_278
; %bb.277:                              ;   in Loop: Header=BB1_263 Depth=2
	v_sub_f32_e32 v0, 1.0, v30
	v_fma_f32 v29, v0, v82, v30
	v_sub_f32_e32 v0, 1.0, v29
	v_mul_f32_e32 v1, v24, v29
	v_div_scale_f32 v2, s[4:5], v1, v1, v0
	v_rcp_f32_e32 v3, v2
                                        ; implicit-def: $vgpr82
	s_nop 0
	v_fma_f32 v4, -v2, v3, 1.0
	v_fmac_f32_e32 v3, v4, v3
	v_div_scale_f32 v4, vcc, v0, v1, v0
	v_mul_f32_e32 v5, v4, v3
	v_fma_f32 v6, -v2, v5, v4
	v_fmac_f32_e32 v5, v6, v3
	v_fma_f32 v2, -v2, v5, v4
	v_div_fmas_f32 v2, v2, v3, v5
	v_div_fixup_f32 v71, v2, v1, v0
	v_sub_f32_e32 v0, 2.0, v71
	v_mul_f32_e32 v0, v71, v0
	v_max_f32_e32 v61, 0, v0
	v_fma_f32 v0, v29, v29, 1.0
	v_mul_f32_e32 v1, v29, v28
	v_fma_f32 v0, -v29, v61, v0
	v_mul_f32_e32 v1, v40, v1
	v_cmp_lt_f32_e64 s[4:5], v1, v0
                                        ; implicit-def: $vgpr28
                                        ; implicit-def: $vgpr0
.LBB1_278:                              ;   in Loop: Header=BB1_263 Depth=2
	s_andn2_saveexec_b64 s[6:7], s[0:1]
	s_cbranch_execz .LBB1_261
; %bb.279:                              ;   in Loop: Header=BB1_263 Depth=2
	v_lshl_add_u32 v0, v0, 7, v75
	ds_read_b32 v60, v0
	v_mul_f32_e32 v0, v63, v82
	v_cmp_nlt_f32_e32 vcc, v0, v62
                                        ; implicit-def: $vgpr0
	s_and_saveexec_b64 s[0:1], vcc
	s_xor_b64 s[8:9], exec, s[0:1]
	s_cbranch_execz .LBB1_281
; %bb.280:                              ;   in Loop: Header=BB1_263 Depth=2
	v_fma_f32 v0, v65, v28, 1.0
	v_sub_f32_e32 v0, v0, v28
	v_mul_f32_e32 v1, 0x4f800000, v0
	v_cmp_gt_f32_e32 vcc, s23, v0
                                        ; implicit-def: $vgpr28
	s_nop 1
	v_cndmask_b32_e32 v0, v0, v1, vcc
	v_sqrt_f32_e32 v1, v0
	s_nop 0
	v_add_u32_e32 v2, -1, v1
	v_fma_f32 v4, -v2, v1, v0
	v_add_u32_e32 v3, 1, v1
	v_cmp_ge_f32_e64 s[0:1], 0, v4
	s_nop 1
	v_cndmask_b32_e64 v2, v1, v2, s[0:1]
	v_fma_f32 v1, -v3, v1, v0
	v_cmp_lt_f32_e64 s[0:1], 0, v1
	s_nop 1
	v_cndmask_b32_e64 v1, v2, v3, s[0:1]
	v_mul_f32_e32 v2, 0x37800000, v1
	v_cndmask_b32_e32 v1, v1, v2, vcc
	v_cmp_class_f32_e32 vcc, v0, v79
	s_nop 1
	v_cndmask_b32_e32 v0, v1, v0, vcc
.LBB1_281:                              ;   in Loop: Header=BB1_263 Depth=2
	s_andn2_saveexec_b64 s[0:1], s[8:9]
	s_cbranch_execz .LBB1_260
; %bb.282:                              ;   in Loop: Header=BB1_263 Depth=2
	v_mul_f32_e32 v0, v62, v28
	v_mul_f32_e32 v1, 0x3fb8aa3b, v0
	v_fma_f32 v2, v0, s97, -v1
	v_rndne_f32_e32 v3, v1
	v_fmac_f32_e32 v2, 0x32a5705f, v0
	v_sub_f32_e32 v1, v1, v3
	v_add_f32_e32 v1, v1, v2
	v_cvt_i32_f32_e32 v2, v3
	v_exp_f32_e32 v1, v1
	v_cmp_ngt_f32_e32 vcc, s48, v0
	v_ldexp_f32 v1, v1, v2
	s_nop 0
	v_cndmask_b32_e32 v1, 0, v1, vcc
	v_cmp_nlt_f32_e32 vcc, s49, v0
	s_nop 1
	v_cndmask_b32_e32 v0, v81, v1, vcc
	s_branch .LBB1_260
.LBB1_283:                              ;   in Loop: Header=BB1_19 Depth=1
	v_cndmask_b32_e64 v2, 0, 1, s[18:19]
	s_branch .LBB1_334
.LBB1_284:                              ;   in Loop: Header=BB1_19 Depth=1
	v_cndmask_b32_e64 v2, 0, 1, s[0:1]
	s_branch .LBB1_334
.LBB1_285:                              ;   in Loop: Header=BB1_19 Depth=1
	flat_load_ubyte v0, v[46:47] sc0 sc1
	s_waitcnt vmcnt(0) lgkmcnt(0)
	v_cmp_lt_u32_e32 vcc, 1, v0
	v_add_u32_e32 v0, 1, v0
	s_and_saveexec_b64 s[18:19], vcc
	s_cbranch_execz .LBB1_288
; %bb.286:                              ;   in Loop: Header=BB1_19 Depth=1
	s_add_u32 s8, s12, 8
	s_addc_u32 s9, s13, 0
	s_getpc_b64 s[0:1]
	s_add_u32 s0, s0, _Z17MT_generate_arrayv@rel32@lo+4
	s_addc_u32 s1, s1, _Z17MT_generate_arrayv@rel32@hi+12
	s_swappc_b64 s[30:31], s[0:1]
	v_mov_b32_e32 v0, 0
	s_or_b64 exec, exec, s[18:19]
	s_and_saveexec_b64 s[0:1], s[14:15]
	s_cbranch_execnz .LBB1_289
.LBB1_287:                              ;   in Loop: Header=BB1_19 Depth=1
	s_or_b64 exec, exec, s[0:1]
	s_and_saveexec_b64 s[2:3], s[16:17]
	s_cbranch_execnz .LBB1_290
	s_branch .LBB1_295
.LBB1_288:                              ;   in Loop: Header=BB1_19 Depth=1
	s_or_b64 exec, exec, s[18:19]
	s_and_saveexec_b64 s[0:1], s[14:15]
	s_cbranch_execz .LBB1_287
.LBB1_289:                              ;   in Loop: Header=BB1_19 Depth=1
	flat_store_byte v[46:47], v0 sc0 sc1
	s_waitcnt vmcnt(0)
	s_or_b64 exec, exec, s[0:1]
	s_and_saveexec_b64 s[2:3], s[16:17]
	s_cbranch_execz .LBB1_295
.LBB1_290:                              ;   in Loop: Header=BB1_19 Depth=1
	v_mul_f32_e32 v1, 0x4f800000, v61
	v_cmp_gt_f32_e32 vcc, s23, v61
	v_lshl_add_u32 v0, v0, 7, v75
	s_nop 0
	v_cndmask_b32_e32 v1, v61, v1, vcc
	v_sqrt_f32_e32 v2, v1
	s_nop 0
	v_add_u32_e32 v3, -1, v2
	v_fma_f32 v5, -v3, v2, v1
	v_add_u32_e32 v4, 1, v2
	v_cmp_ge_f32_e64 s[0:1], 0, v5
	s_nop 1
	v_cndmask_b32_e64 v3, v2, v3, s[0:1]
	v_fma_f32 v2, -v4, v2, v1
	v_cmp_lt_f32_e64 s[0:1], 0, v2
	s_nop 1
	v_cndmask_b32_e64 v2, v3, v4, s[0:1]
	ds_read_b32 v4, v0
	v_mul_f32_e32 v3, 0x37800000, v2
	v_cndmask_b32_e32 v0, v2, v3, vcc
	v_cmp_class_f32_e32 vcc, v1, v79
	s_waitcnt lgkmcnt(0)
	v_mul_f32_e32 v2, 0x40c90fdb, v4
	v_mul_f32_e32 v2, 0.15915494, v2
	v_sin_f32_e32 v4, v2
	v_cos_f32_e32 v5, v2
	v_pk_mul_f32 v[2:3], v[26:27], v[26:27]
	v_cndmask_b32_e32 v1, v0, v1, vcc
	v_add_f32_e32 v2, v3, v2
	v_sub_f32_e32 v0, 1.0, v71
	v_cmp_ngt_f32_e32 vcc, s50, v2
	v_mul_f32_e32 v3, v1, v4
	s_and_saveexec_b64 s[0:1], vcc
	s_xor_b64 s[4:5], exec, s[0:1]
	s_cbranch_execz .LBB1_292
; %bb.291:                              ;   in Loop: Header=BB1_19 Depth=1
	v_mul_f32_e32 v4, 0x4f800000, v2
	v_cmp_gt_f32_e32 vcc, s23, v2
	v_mov_b32_e32 v65, v3
	s_nop 0
	v_cndmask_b32_e32 v2, v2, v4, vcc
	v_sqrt_f32_e32 v4, v2
	s_nop 0
	v_add_u32_e32 v6, -1, v4
	v_fma_f32 v8, -v6, v4, v2
	v_add_u32_e32 v7, 1, v4
	v_cmp_ge_f32_e64 s[0:1], 0, v8
	s_nop 1
	v_cndmask_b32_e64 v6, v4, v6, s[0:1]
	v_fma_f32 v4, -v7, v4, v2
	v_cmp_lt_f32_e64 s[0:1], 0, v4
	s_nop 1
	v_cndmask_b32_e64 v4, v6, v7, s[0:1]
	v_mul_f32_e32 v6, 0x37800000, v4
	v_cndmask_b32_e32 v4, v4, v6, vcc
	v_cmp_class_f32_e32 vcc, v2, v79
	s_nop 1
	v_cndmask_b32_e32 v10, v4, v2, vcc
	v_div_scale_f32 v2, s[0:1], v10, v10, v27
	v_rcp_f32_e32 v4, v2
	s_nop 0
	v_fma_f32 v6, -v2, v4, 1.0
	v_fmac_f32_e32 v4, v6, v4
	v_div_scale_f32 v6, vcc, v27, v10, v27
	v_mul_f32_e32 v7, v6, v4
	v_fma_f32 v8, -v2, v7, v6
	v_fmac_f32_e32 v7, v8, v4
	v_fma_f32 v2, -v2, v7, v6
	v_div_scale_f32 v6, s[0:1], v10, v10, v26
	v_rcp_f32_e32 v8, v6
	v_div_fmas_f32 v2, v2, v4, v7
	v_div_fixup_f32 v7, v2, v10, v27
	v_fma_f32 v2, -v6, v8, 1.0
	v_fmac_f32_e32 v8, v2, v8
	v_div_scale_f32 v2, vcc, v26, v10, v26
	v_mul_f32_e32 v4, v2, v8
	v_fma_f32 v9, -v6, v4, v2
	v_fmac_f32_e32 v4, v9, v8
	v_fma_f32 v2, -v6, v4, v2
	v_div_fmas_f32 v2, v2, v8, v4
	v_div_fixup_f32 v6, v2, v10, v26
	v_pk_mul_f32 v[8:9], v[64:65], v[6:7]
	v_mov_b32_e32 v65, v1
	v_mov_b32_e32 v4, v7
	v_pk_mul_f32 v[4:5], v[64:65], v[4:5]
	v_pk_mov_b32 v[6:7], v[26:27], v[6:7] op_sel:[1,0]
	v_pk_fma_f32 v[8:9], v[8:9], v[4:5], v[8:9] op_sel:[0,1,1] op_sel_hi:[1,0,0] neg_lo:[0,0,1] neg_hi:[0,0,1]
	v_mov_b32_e32 v1, v3
	v_mul_f32_e32 v4, v4, v5
	v_pk_fma_f32 v[6:7], v[6:7], v[0:1], v[4:5] op_sel_hi:[1,1,0]
	v_mov_b32_e32 v65, v10
	v_mov_b32_e32 v1, v5
	v_mul_f32_e32 v2, v26, v0
	v_mul_f32_e32 v3, v27, v0
	v_mov_b32_e32 v9, v7
	v_pk_mul_f32 v[0:1], v[64:65], v[0:1]
	v_pk_add_f32 v[26:27], v[2:3], v[8:9]
	v_sub_f32_e32 v64, v0, v1
                                        ; implicit-def: $vgpr1
                                        ; implicit-def: $vgpr5
                                        ; implicit-def: $vgpr0
                                        ; implicit-def: $vgpr3
.LBB1_292:                              ;   in Loop: Header=BB1_19 Depth=1
	s_andn2_saveexec_b64 s[0:1], s[4:5]
; %bb.293:                              ;   in Loop: Header=BB1_19 Depth=1
	v_mul_f32_e32 v2, v1, v5
	v_mul_f32_e32 v64, v64, v0
	v_mov_b64_e32 v[26:27], v[2:3]
; %bb.294:                              ;   in Loop: Header=BB1_19 Depth=1
	s_or_b64 exec, exec, s[0:1]
.LBB1_295:                              ;   in Loop: Header=BB1_19 Depth=1
	s_or_b64 exec, exec, s[2:3]
	v_cndmask_b32_e64 v0, 0, 1, s[16:17]
	v_cmp_ne_u32_e32 vcc, 0, v0
	s_and_saveexec_b64 s[0:1], s[14:15]
	s_cbranch_execz .LBB1_297
; %bb.296:                              ;   in Loop: Header=BB1_19 Depth=1
	scratch_load_dwordx2 v[2:3], off, off offset:64 ; 8-byte Folded Reload
	s_bcnt1_i32_b32 s2, vcc_lo
	s_waitcnt vmcnt(0)
	flat_load_dword v1, v[2:3] sc0 sc1
	s_waitcnt vmcnt(0) lgkmcnt(0)
	v_add_u32_e32 v1, s2, v1
	flat_store_dword v[2:3], v1 sc0 sc1
	s_waitcnt vmcnt(0)
	flat_load_dword v1, v[50:51] sc0 sc1
	s_waitcnt vmcnt(0) lgkmcnt(0)
	v_add_u32_e32 v1, 1, v1
	flat_store_dword v[50:51], v1 sc0 sc1
	s_waitcnt vmcnt(0)
.LBB1_297:                              ;   in Loop: Header=BB1_19 Depth=1
	s_or_b64 exec, exec, s[0:1]
	v_mul_f32_e32 v1, v68, v29
	v_cndmask_b32_e64 v23, v23, 2, s[16:17]
	v_cndmask_b32_e64 v68, v68, v1, s[16:17]
	v_add_u32_e32 v22, v22, v0
.LBB1_298:                              ;   in Loop: Header=BB1_19 Depth=1
	s_or_b64 s[2:3], s[78:79], s[16:17]
	v_cndmask_b32_e64 v0, 0, 1, s[2:3]
	v_cmp_ne_u32_e32 vcc, 0, v0
	s_cmp_eq_u64 vcc, exec
	s_cbranch_scc1 .LBB1_333
; %bb.299:                              ;   in Loop: Header=BB1_19 Depth=1
	v_mov_b32_e32 v0, 5
	v_cmp_eq_u16_sdwa vcc, v23, v0 src0_sel:BYTE_0 src1_sel:DWORD
	s_cbranch_vccz .LBB1_303
; %bb.300:                              ;   in Loop: Header=BB1_19 Depth=1
	s_nop 0
	v_cndmask_b32_e64 v0, 0, 1, vcc
	v_cmp_ne_u32_e64 s[0:1], 0, v0
	s_and_saveexec_b64 s[4:5], s[14:15]
	s_cbranch_execz .LBB1_302
; %bb.301:                              ;   in Loop: Header=BB1_19 Depth=1
	scratch_load_dwordx2 v[2:3], off, off offset:104 ; 8-byte Folded Reload
	s_bcnt1_i32_b32 s0, s0
	s_waitcnt vmcnt(0)
	flat_load_dword v0, v[2:3] sc0 sc1
	s_waitcnt vmcnt(0) lgkmcnt(0)
	v_add_u32_e32 v0, s0, v0
	flat_store_dword v[2:3], v0 sc0 sc1
	s_waitcnt vmcnt(0)
	flat_load_dword v0, v[50:51] sc0 sc1
	s_waitcnt vmcnt(0) lgkmcnt(0)
	v_add_u32_e32 v0, 1, v0
	flat_store_dword v[50:51], v0 sc0 sc1
	s_waitcnt vmcnt(0)
.LBB1_302:                              ;   in Loop: Header=BB1_19 Depth=1
	s_or_b64 exec, exec, s[4:5]
	v_cndmask_b32_e64 v23, v23, 8, vcc
.LBB1_303:                              ;   in Loop: Header=BB1_19 Depth=1
	s_or_b64 s[18:19], s[2:3], vcc
	v_cndmask_b32_e64 v0, 0, 1, s[18:19]
	v_cmp_ne_u32_e64 s[0:1], 0, v0
	s_cmp_eq_u64 s[0:1], exec
	s_cbranch_scc1 .LBB1_379
; %bb.304:                              ;   in Loop: Header=BB1_19 Depth=1
	v_mov_b32_e32 v0, 3
	v_cmp_eq_u16_sdwa s[16:17], v23, v0 src0_sel:BYTE_0 src1_sel:DWORD
	v_cmp_ne_u16_sdwa s[0:1], v23, v0 src0_sel:BYTE_0 src1_sel:DWORD
	s_mov_b64 vcc, s[16:17]
	s_cbranch_vccz .LBB1_368
; %bb.305:                              ;   in Loop: Header=BB1_19 Depth=1
                                        ; implicit-def: $vgpr0
	s_and_saveexec_b64 s[2:3], s[16:17]
	s_cbranch_execz .LBB1_307
; %bb.306:                              ;   in Loop: Header=BB1_19 Depth=1
	v_mov_b32_e32 v71, v41
	v_lshl_add_u64 v[0:1], v[70:71], 4, s[64:65]
	global_load_ushort v0, v[0:1], off
	v_add_u32_e32 v22, 0x10000, v22
	v_mov_b32_e32 v23, 2
.LBB1_307:                              ;   in Loop: Header=BB1_19 Depth=1
	s_or_b64 exec, exec, s[2:3]
	s_waitcnt vmcnt(0)
	v_and_b32_e32 v0, 0xffff, v0
	s_and_saveexec_b64 s[2:3], s[0:1]
	s_xor_b64 s[0:1], exec, s[2:3]
	s_or_saveexec_b64 s[2:3], s[0:1]
	v_mov_b32_e32 v24, 0
	v_mov_b32_e32 v60, 0
	;; [unrolled: 1-line block ×3, first 2 shown]
	s_xor_b64 exec, exec, s[2:3]
	s_cbranch_execz .LBB1_309
; %bb.308:                              ;   in Loop: Header=BB1_19 Depth=1
	v_cmp_gt_f32_e32 vcc, s39, v68
	v_mul_f32_e32 v29, 0x42a14f65, v68
	s_nop 0
	v_cndmask_b32_e64 v1, 0, 32, vcc
	v_ldexp_f32 v1, v68, v1
	v_log_f32_e32 v1, v1
	s_nop 0
	v_mul_f32_e32 v2, 0x3f317217, v1
	v_fma_f32 v2, v1, s47, -v2
	v_fmac_f32_e32 v2, 0x3377d1cf, v1
	v_fmac_f32_e32 v2, 0x3f317217, v1
	v_cmp_lt_f32_e64 s[0:1], |v1|, s51
	s_nop 1
	v_cndmask_b32_e64 v1, v1, v2, s[0:1]
	v_cndmask_b32_e32 v2, 0, v80, vcc
	v_sub_f32_e32 v1, v1, v2
	v_lshlrev_b32_e32 v2, 3, v0
	global_load_dwordx2 v[2:3], v2, s[66:67]
	v_readlane_b32 s0, v127, 23
	v_readlane_b32 s1, v127, 24
	s_waitcnt vmcnt(0)
	v_fmac_f32_e32 v2, v1, v3
	v_cvt_i32_f32_e32 v2, v2
	v_mad_u32_u24 v2, v0, s62, v2
	v_ashrrev_i32_e32 v3, 31, v2
	v_lshl_add_u64 v[2:3], v[2:3], 3, s[0:1]
	global_load_dwordx2 v[60:61], v[2:3], off
	s_waitcnt vmcnt(0)
	v_fmac_f32_e32 v60, v1, v61
.LBB1_309:                              ;   in Loop: Header=BB1_19 Depth=1
	s_or_b64 exec, exec, s[2:3]
	s_xor_b64 s[80:81], s[16:17], -1
	v_mul_u32_u24_e32 v30, 0x64, v0
	v_mov_b32_e32 v28, 0
	v_mov_b32_e32 v40, 0
	s_branch .LBB1_312
.LBB1_310:                              ;   in Loop: Header=BB1_312 Depth=2
	s_or_b64 exec, exec, s[4:5]
	v_mul_f32_e32 v24, v28, v28
	s_orn2_b64 s[80:81], s[2:3], exec
.LBB1_311:                              ;   in Loop: Header=BB1_312 Depth=2
	s_or_b64 exec, exec, s[0:1]
	v_cndmask_b32_e64 v0, 0, 1, s[80:81]
	v_cmp_ne_u32_e32 vcc, 0, v0
	s_cmp_lg_u64 vcc, exec
	s_cbranch_scc0 .LBB1_355
.LBB1_312:                              ;   Parent Loop BB1_19 Depth=1
                                        ; =>  This Loop Header: Depth=2
                                        ;       Child Loop BB1_315 Depth 3
                                        ;         Child Loop BB1_324 Depth 4
	s_xor_b64 s[78:79], s[80:81], -1
	s_branch .LBB1_315
.LBB1_313:                              ;   in Loop: Header=BB1_315 Depth=3
	s_or_b64 exec, exec, s[4:5]
	v_lshl_add_u64 v[0:1], v[0:1], 4, s[86:87]
	global_load_dwordx4 v[0:3], v[0:1], off
	s_waitcnt vmcnt(0)
	v_sub_f32_e32 v1, v4, v1
	v_fma_f32 v1, v1, v3, 1.0
	v_cmp_gt_f32_e32 vcc, s39, v1
	s_nop 1
	v_cndmask_b32_e64 v3, 0, 32, vcc
	v_ldexp_f32 v1, v1, v3
	v_log_f32_e32 v1, v1
	v_cndmask_b32_e32 v3, 0, v80, vcc
	v_mul_f32_e32 v4, 0x3f317217, v1
	v_fma_f32 v4, v1, s47, -v4
	v_fmac_f32_e32 v4, 0x3377d1cf, v1
	v_fmac_f32_e32 v4, 0x3f317217, v1
	v_cmp_lt_f32_e64 vcc, |v1|, s51
	s_nop 1
	v_cndmask_b32_e32 v1, v1, v4, vcc
	v_sub_f32_e32 v1, v1, v3
	v_mul_f32_e32 v1, v2, v1
	v_mul_f32_e32 v2, 0x3fb8aa3b, v1
	v_fma_f32 v3, v1, s97, -v2
	v_rndne_f32_e32 v4, v2
	v_fmac_f32_e32 v3, 0x32a5705f, v1
	v_sub_f32_e32 v2, v2, v4
	v_add_f32_e32 v2, v2, v3
	v_cvt_i32_f32_e32 v4, v4
	v_exp_f32_e32 v2, v2
	v_cmp_ngt_f32_e32 vcc, s48, v1
	v_ldexp_f32 v2, v2, v4
	s_nop 0
	v_cndmask_b32_e32 v2, 0, v2, vcc
	v_cmp_nlt_f32_e32 vcc, s49, v1
	s_nop 1
	v_cndmask_b32_e32 v1, v81, v2, vcc
	v_mul_f32_e32 v40, v0, v1
	v_cmp_lt_f32_e32 vcc, v40, v29
	s_orn2_b64 s[80:81], vcc, exec
.LBB1_314:                              ;   in Loop: Header=BB1_315 Depth=3
	s_or_b64 exec, exec, s[2:3]
	v_cndmask_b32_e64 v0, 0, 1, s[80:81]
	v_cmp_ne_u32_e32 vcc, 0, v0
	s_cmp_lg_u64 vcc, exec
	s_cbranch_scc0 .LBB1_326
.LBB1_315:                              ;   Parent Loop BB1_19 Depth=1
                                        ;     Parent Loop BB1_312 Depth=2
                                        ; =>    This Loop Header: Depth=3
                                        ;         Child Loop BB1_324 Depth 4
	flat_load_ubyte v0, v[46:47] sc0 sc1
	s_waitcnt vmcnt(0) lgkmcnt(0)
	v_cmp_lt_u32_e32 vcc, 1, v0
	v_add_u32_e32 v0, 1, v0
	s_and_saveexec_b64 s[70:71], vcc
	s_cbranch_execz .LBB1_317
; %bb.316:                              ;   in Loop: Header=BB1_315 Depth=3
	s_add_u32 s8, s12, 8
	s_addc_u32 s9, s13, 0
	s_getpc_b64 s[0:1]
	s_add_u32 s0, s0, _Z17MT_generate_arrayv@rel32@lo+4
	s_addc_u32 s1, s1, _Z17MT_generate_arrayv@rel32@hi+12
	s_swappc_b64 s[30:31], s[0:1]
	v_mov_b32_e32 v0, 0
.LBB1_317:                              ;   in Loop: Header=BB1_315 Depth=3
	s_or_b64 exec, exec, s[70:71]
	s_and_saveexec_b64 s[0:1], s[14:15]
	s_cbranch_execz .LBB1_319
; %bb.318:                              ;   in Loop: Header=BB1_315 Depth=3
	flat_store_byte v[46:47], v0 sc0 sc1
	s_waitcnt vmcnt(0)
.LBB1_319:                              ;   in Loop: Header=BB1_315 Depth=3
	s_or_b64 exec, exec, s[0:1]
	s_xor_b64 s[0:1], s[80:81], -1
	s_mov_b64 s[80:81], -1
	s_and_saveexec_b64 s[2:3], s[0:1]
	s_cbranch_execz .LBB1_314
; %bb.320:                              ;   in Loop: Header=BB1_315 Depth=3
	v_lshl_add_u32 v0, v0, 7, v75
	ds_read_b32 v0, v0
	s_waitcnt lgkmcnt(0)
	v_mul_f32_e32 v4, v60, v0
	v_mul_f32_e32 v0, 0x42c60000, v4
	v_cvt_i32_f32_e32 v0, v0
	v_add_u32_e32 v0, v30, v0
	v_ashrrev_i32_e32 v1, 31, v0
	v_lshl_add_u64 v[0:1], v[0:1], 2, s[84:85]
	global_load_dwordx2 v[0:1], v[0:1], off
	s_waitcnt vmcnt(0)
	v_add_u32_e32 v5, -1, v0
	v_add_u32_e32 v0, -1, v1
	v_cmp_le_i32_e32 vcc, v0, v5
                                        ; implicit-def: $vgpr0_vgpr1
	s_and_saveexec_b64 s[0:1], vcc
	s_xor_b64 s[0:1], exec, s[0:1]
; %bb.321:                              ;   in Loop: Header=BB1_315 Depth=3
	v_add_u32_e32 v0, v5, v30
	v_ashrrev_i32_e32 v1, 31, v0
                                        ; implicit-def: $vgpr5
; %bb.322:                              ;   in Loop: Header=BB1_315 Depth=3
	s_andn2_saveexec_b64 s[4:5], s[0:1]
	s_cbranch_execz .LBB1_313
; %bb.323:                              ;   in Loop: Header=BB1_315 Depth=3
	v_add_u32_e32 v2, v30, v5
	v_ashrrev_i32_e32 v3, 31, v2
	v_lshl_add_u64 v[0:1], v[2:3], 0, -1
	v_lshl_add_u64 v[2:3], v[2:3], 4, s[88:89]
	s_mov_b64 s[6:7], 0
.LBB1_324:                              ;   Parent Loop BB1_19 Depth=1
                                        ;     Parent Loop BB1_312 Depth=2
                                        ;       Parent Loop BB1_315 Depth=3
                                        ; =>      This Inner Loop Header: Depth=4
	global_load_dword v6, v[2:3], off
	s_movk_i32 s0, 0x61
	v_cmp_lt_i32_e32 vcc, s0, v5
	v_add_u32_e32 v5, 1, v5
	v_lshl_add_u64 v[0:1], v[0:1], 0, 1
	v_lshl_add_u64 v[2:3], v[2:3], 0, 16
	s_waitcnt vmcnt(0)
	v_cmp_lt_f32_e64 s[0:1], v4, v6
	s_or_b64 s[0:1], vcc, s[0:1]
	s_and_b64 s[0:1], exec, s[0:1]
	s_or_b64 s[6:7], s[0:1], s[6:7]
	s_andn2_b64 exec, exec, s[6:7]
	s_cbranch_execnz .LBB1_324
; %bb.325:                              ;   in Loop: Header=BB1_315 Depth=3
	s_or_b64 exec, exec, s[6:7]
	s_branch .LBB1_313
.LBB1_326:                              ;   in Loop: Header=BB1_312 Depth=2
	flat_load_ubyte v0, v[46:47] sc0 sc1
	s_waitcnt vmcnt(0) lgkmcnt(0)
	v_cmp_lt_u32_e32 vcc, 1, v0
	v_add_u32_e32 v0, 1, v0
	s_and_saveexec_b64 s[70:71], vcc
	s_cbranch_execz .LBB1_329
; %bb.327:                              ;   in Loop: Header=BB1_312 Depth=2
	s_add_u32 s8, s12, 8
	s_addc_u32 s9, s13, 0
	s_getpc_b64 s[0:1]
	s_add_u32 s0, s0, _Z17MT_generate_arrayv@rel32@lo+4
	s_addc_u32 s1, s1, _Z17MT_generate_arrayv@rel32@hi+12
	s_swappc_b64 s[30:31], s[0:1]
	v_mov_b32_e32 v0, 0
	s_or_b64 exec, exec, s[70:71]
	s_and_saveexec_b64 s[0:1], s[14:15]
	s_cbranch_execnz .LBB1_330
.LBB1_328:                              ;   in Loop: Header=BB1_312 Depth=2
	s_or_b64 exec, exec, s[0:1]
	s_mov_b64 s[80:81], -1
	s_and_saveexec_b64 s[0:1], s[78:79]
	s_cbranch_execz .LBB1_311
	s_branch .LBB1_331
.LBB1_329:                              ;   in Loop: Header=BB1_312 Depth=2
	s_or_b64 exec, exec, s[70:71]
	s_and_saveexec_b64 s[0:1], s[14:15]
	s_cbranch_execz .LBB1_328
.LBB1_330:                              ;   in Loop: Header=BB1_312 Depth=2
	flat_store_byte v[46:47], v0 sc0 sc1
	s_waitcnt vmcnt(0)
	s_or_b64 exec, exec, s[0:1]
	s_mov_b64 s[80:81], -1
	s_and_saveexec_b64 s[0:1], s[78:79]
	s_cbranch_execz .LBB1_311
.LBB1_331:                              ;   in Loop: Header=BB1_312 Depth=2
	v_div_scale_f32 v1, s[2:3], v68, v68, v40
	v_rcp_f32_e32 v2, v1
	v_lshl_add_u32 v0, v0, 7, v75
	ds_read_b32 v0, v0
	s_mov_b64 s[2:3], 0
	v_fma_f32 v3, -v1, v2, 1.0
	v_fmac_f32_e32 v2, v3, v2
	v_div_scale_f32 v3, vcc, v40, v68, v40
	v_mul_f32_e32 v4, v3, v2
	v_fma_f32 v5, -v1, v4, v3
	v_fmac_f32_e32 v4, v5, v2
	v_fma_f32 v1, -v1, v4, v3
	v_div_fmas_f32 v1, v1, v2, v4
	v_div_fixup_f32 v40, v1, v68, v40
	v_mul_f32_e32 v1, 0xb9a1307f, v40
	v_fma_f32 v28, v40, v1, 1.0
	s_waitcnt lgkmcnt(0)
	v_add_f32_e32 v0, v0, v0
	v_fma_f32 v1, v28, v28, 1.0
	v_cmp_lt_f32_e32 vcc, v0, v1
	s_and_saveexec_b64 s[4:5], vcc
	s_cbranch_execz .LBB1_310
; %bb.332:                              ;   in Loop: Header=BB1_312 Depth=2
	s_mov_b64 s[2:3], exec
	s_branch .LBB1_310
.LBB1_333:                              ;   in Loop: Header=BB1_19 Depth=1
	v_cndmask_b32_e64 v2, 0, 1, s[16:17]
.LBB1_334:                              ;   in Loop: Header=BB1_19 Depth=1
	s_mov_b64 s[0:1], -1
.LBB1_335:                              ;   in Loop: Header=BB1_19 Depth=1
	v_mov_b32_e32 v24, v64
	s_and_b64 vcc, exec, s[0:1]
	s_mov_b64 s[0:1], -1
	s_cbranch_vccz .LBB1_18
.LBB1_336:                              ;   in Loop: Header=BB1_19 Depth=1
	s_add_i32 s63, s63, 1
	s_cmpk_eq_u32 s63, 0x8000
	s_mov_b64 s[90:91], 0
	s_cselect_b64 s[0:1], -1, 0
	v_mov_b32_e32 v64, v24
	s_branch .LBB1_18
.LBB1_337:                              ;   in Loop: Header=BB1_19 Depth=1
	s_andn2_saveexec_b64 s[2:3], s[2:3]
	s_cbranch_execz .LBB1_222
.LBB1_338:                              ;   in Loop: Header=BB1_19 Depth=1
	v_cmp_ne_u32_e32 vcc, 0, v22
	v_mov_b32_e32 v23, v41
	s_andn2_b64 s[4:5], s[4:5], exec
	s_and_b64 s[6:7], vcc, exec
	s_or_b64 s[4:5], s[4:5], s[6:7]
	v_mov_b64_e32 v[0:1], v[22:23]
	s_or_b64 exec, exec, s[2:3]
	s_and_saveexec_b64 s[2:3], s[4:5]
	s_cbranch_execnz .LBB1_223
	s_branch .LBB1_224
.LBB1_339:                              ;   in Loop: Header=BB1_19 Depth=1
	s_andn2_saveexec_b64 s[8:9], s[78:79]
	s_cbranch_execz .LBB1_249
.LBB1_340:                              ;   in Loop: Header=BB1_19 Depth=1
	v_cmp_ne_u32_e32 vcc, 1, v3
	s_mov_b64 s[78:79], s[6:7]
                                        ; implicit-def: $vgpr2
                                        ; implicit-def: $vgpr6
	s_and_saveexec_b64 s[2:3], vcc
	s_xor_b64 s[4:5], exec, s[2:3]
	s_cbranch_execz .LBB1_346
; %bb.341:                              ;   in Loop: Header=BB1_19 Depth=1
	v_cmp_lt_i32_e32 vcc, -1, v4
	s_mov_b64 s[2:3], s[6:7]
                                        ; implicit-def: $vgpr2
                                        ; implicit-def: $vgpr6
	s_and_saveexec_b64 s[78:79], vcc
	s_cbranch_execz .LBB1_345
; %bb.342:                              ;   in Loop: Header=BB1_19 Depth=1
	v_cmp_gt_i32_e32 vcc, s54, v4
	v_cmp_lt_i32_e64 s[2:3], -1, v5
	s_and_b64 s[2:3], vcc, s[2:3]
	v_cmp_gt_i32_e32 vcc, s55, v5
	s_and_b64 s[80:81], s[2:3], vcc
	s_mov_b64 s[2:3], s[6:7]
                                        ; implicit-def: $vgpr2
                                        ; implicit-def: $vgpr6
	s_and_saveexec_b64 s[70:71], s[80:81]
; %bb.343:                              ;   in Loop: Header=BB1_19 Depth=1
	v_mad_u64_u32 v[6:7], s[2:3], s54, v5, v[4:5]
	v_mul_f32_e32 v2, v69, v68
	s_or_b64 s[2:3], s[6:7], exec
; %bb.344:                              ;   in Loop: Header=BB1_19 Depth=1
	s_or_b64 exec, exec, s[70:71]
	s_andn2_b64 s[70:71], s[6:7], exec
	s_and_b64 s[2:3], s[2:3], exec
	s_or_b64 s[2:3], s[70:71], s[2:3]
.LBB1_345:                              ;   in Loop: Header=BB1_19 Depth=1
	s_or_b64 exec, exec, s[78:79]
	s_andn2_b64 s[70:71], s[6:7], exec
	s_and_b64 s[2:3], s[2:3], exec
	s_or_b64 s[78:79], s[70:71], s[2:3]
                                        ; implicit-def: $vgpr4
                                        ; implicit-def: $vgpr5
.LBB1_346:                              ;   in Loop: Header=BB1_19 Depth=1
	s_andn2_saveexec_b64 s[80:81], s[4:5]
	s_cbranch_execz .LBB1_354
; %bb.347:                              ;   in Loop: Header=BB1_19 Depth=1
	v_cmp_gt_i32_e64 s[2:3], s54, v4
	v_cmp_lt_i32_e64 s[4:5], -1, v5
	s_and_b64 s[4:5], s[2:3], s[4:5]
	v_cmp_gt_i32_e64 s[2:3], s55, v5
	v_mul_f32_e32 v3, 0.5, v69
	v_cmp_lt_i32_e32 vcc, -1, v4
	s_and_b64 s[2:3], s[4:5], s[2:3]
	v_mul_f32_e32 v2, v3, v68
	s_and_b64 s[4:5], vcc, s[2:3]
	s_and_saveexec_b64 s[2:3], s[4:5]
	s_cbranch_execz .LBB1_349
; %bb.348:                              ;   in Loop: Header=BB1_19 Depth=1
	v_lshlrev_b64 v[6:7], 3, v[0:1]
	v_lshl_add_u64 v[8:9], s[56:57], 0, v[6:7]
	global_load_dwordx2 v[8:9], v[8:9], off
	v_mad_u64_u32 v[10:11], s[4:5], s54, v5, v[4:5]
	v_mov_b32_e32 v11, v41
	v_lshlrev_b64 v[10:11], 2, v[10:11]
	v_lshl_add_u64 v[6:7], s[58:59], 0, v[6:7]
	s_waitcnt vmcnt(0)
	v_lshl_add_u64 v[8:9], v[8:9], 0, v[10:11]
	global_atomic_add_f32 v[8:9], v3, off
	global_load_dwordx2 v[6:7], v[6:7], off
	s_waitcnt vmcnt(0)
	v_lshl_add_u64 v[6:7], v[6:7], 0, v[10:11]
	global_atomic_add_f32 v[6:7], v2, off
.LBB1_349:                              ;   in Loop: Header=BB1_19 Depth=1
	s_or_b64 exec, exec, s[2:3]
	v_cmp_lt_i32_e32 vcc, 0, v4
	s_mov_b64 s[2:3], s[78:79]
                                        ; implicit-def: $vgpr6
	s_and_saveexec_b64 s[70:71], vcc
	s_cbranch_execz .LBB1_353
; %bb.350:                              ;   in Loop: Header=BB1_19 Depth=1
	v_cmp_lt_i32_e64 s[2:3], -1, v5
	v_cmp_gt_i32_e64 s[4:5], s55, v5
	v_cmp_ge_i32_e32 vcc, s54, v4
	s_and_b64 s[2:3], s[2:3], s[4:5]
	s_and_b64 vcc, s[2:3], vcc
	s_mov_b64 s[2:3], s[78:79]
                                        ; implicit-def: $vgpr6
	s_and_saveexec_b64 s[4:5], vcc
; %bb.351:                              ;   in Loop: Header=BB1_19 Depth=1
	v_mul_lo_u32 v5, s54, v5
	v_add3_u32 v6, v4, v5, -1
	s_or_b64 s[2:3], s[78:79], exec
; %bb.352:                              ;   in Loop: Header=BB1_19 Depth=1
	s_or_b64 exec, exec, s[4:5]
	s_andn2_b64 s[4:5], s[78:79], exec
	s_and_b64 s[2:3], s[2:3], exec
	s_or_b64 s[2:3], s[4:5], s[2:3]
.LBB1_353:                              ;   in Loop: Header=BB1_19 Depth=1
	s_or_b64 exec, exec, s[70:71]
	s_andn2_b64 s[4:5], s[78:79], exec
	s_and_b64 s[2:3], s[2:3], exec
	s_or_b64 s[78:79], s[4:5], s[2:3]
	v_mov_b64_e32 v[68:69], v[2:3]
.LBB1_354:                              ;   in Loop: Header=BB1_19 Depth=1
	s_or_b64 exec, exec, s[80:81]
	s_andn2_b64 s[2:3], s[6:7], exec
	s_and_b64 s[4:5], s[78:79], exec
	s_or_b64 s[6:7], s[2:3], s[4:5]
	s_or_b64 exec, exec, s[8:9]
	s_and_saveexec_b64 s[2:3], s[6:7]
	s_cbranch_execnz .LBB1_250
	s_branch .LBB1_251
.LBB1_355:                              ;   in Loop: Header=BB1_19 Depth=1
	flat_load_ubyte v0, v[46:47] sc0 sc1
	s_waitcnt vmcnt(0) lgkmcnt(0)
	v_cmp_lt_u32_e32 vcc, 1, v0
	v_add_u32_e32 v0, 1, v0
	s_and_saveexec_b64 s[70:71], vcc
	s_cbranch_execz .LBB1_358
; %bb.356:                              ;   in Loop: Header=BB1_19 Depth=1
	s_add_u32 s8, s12, 8
	s_addc_u32 s9, s13, 0
	s_getpc_b64 s[0:1]
	s_add_u32 s0, s0, _Z17MT_generate_arrayv@rel32@lo+4
	s_addc_u32 s1, s1, _Z17MT_generate_arrayv@rel32@hi+12
	s_swappc_b64 s[30:31], s[0:1]
	v_mov_b32_e32 v0, 0
	s_or_b64 exec, exec, s[70:71]
	s_and_saveexec_b64 s[0:1], s[14:15]
	s_cbranch_execnz .LBB1_359
.LBB1_357:                              ;   in Loop: Header=BB1_19 Depth=1
	s_or_b64 exec, exec, s[0:1]
	s_and_saveexec_b64 s[2:3], s[16:17]
	s_cbranch_execnz .LBB1_360
	s_branch .LBB1_365
.LBB1_358:                              ;   in Loop: Header=BB1_19 Depth=1
	s_or_b64 exec, exec, s[70:71]
	s_and_saveexec_b64 s[0:1], s[14:15]
	s_cbranch_execz .LBB1_357
.LBB1_359:                              ;   in Loop: Header=BB1_19 Depth=1
	flat_store_byte v[46:47], v0 sc0 sc1
	s_waitcnt vmcnt(0)
	s_or_b64 exec, exec, s[0:1]
	s_and_saveexec_b64 s[2:3], s[16:17]
	s_cbranch_execz .LBB1_365
.LBB1_360:                              ;   in Loop: Header=BB1_19 Depth=1
	v_sub_f32_e32 v1, 1.0, v24
	v_mul_f32_e32 v2, 0x4f800000, v1
	v_cmp_gt_f32_e32 vcc, s23, v1
	v_lshl_add_u32 v0, v0, 7, v75
	ds_read_b32 v0, v0
	v_cndmask_b32_e32 v1, v1, v2, vcc
	v_sqrt_f32_e32 v2, v1
	s_waitcnt lgkmcnt(0)
	v_mul_f32_e32 v0, 0x40c90fdb, v0
	v_add_u32_e32 v3, -1, v2
	v_fma_f32 v5, -v3, v2, v1
	v_add_u32_e32 v4, 1, v2
	v_cmp_ge_f32_e64 s[0:1], 0, v5
	v_mul_f32_e32 v0, 0.15915494, v0
	v_cos_f32_e32 v5, v0
	v_cndmask_b32_e64 v3, v2, v3, s[0:1]
	v_fma_f32 v2, -v4, v2, v1
	v_cmp_lt_f32_e64 s[0:1], 0, v2
	s_nop 1
	v_cndmask_b32_e64 v2, v3, v4, s[0:1]
	v_mul_f32_e32 v3, 0x37800000, v2
	v_sin_f32_e32 v4, v0
	v_cndmask_b32_e32 v2, v2, v3, vcc
	v_cmp_class_f32_e32 vcc, v1, v79
	s_nop 1
	v_cndmask_b32_e32 v3, v2, v1, vcc
	v_pk_mul_f32 v[0:1], v[26:27], v[26:27]
	s_nop 0
	v_add_f32_e32 v2, v1, v0
	v_cmp_ngt_f32_e32 vcc, s50, v2
	v_mul_f32_e32 v1, v3, v4
	v_mul_f32_e32 v0, v3, v5
	s_and_saveexec_b64 s[0:1], vcc
	s_xor_b64 s[4:5], exec, s[0:1]
	s_cbranch_execz .LBB1_362
; %bb.361:                              ;   in Loop: Header=BB1_19 Depth=1
	v_mul_f32_e32 v3, 0x4f800000, v2
	v_cmp_gt_f32_e32 vcc, s23, v2
	s_nop 1
	v_cndmask_b32_e32 v2, v2, v3, vcc
	v_sqrt_f32_e32 v3, v2
	s_nop 0
	v_add_u32_e32 v4, -1, v3
	v_fma_f32 v6, -v4, v3, v2
	v_add_u32_e32 v5, 1, v3
	v_cmp_ge_f32_e64 s[0:1], 0, v6
	s_nop 1
	v_cndmask_b32_e64 v4, v3, v4, s[0:1]
	v_fma_f32 v3, -v5, v3, v2
	v_cmp_lt_f32_e64 s[0:1], 0, v3
	s_nop 1
	v_cndmask_b32_e64 v3, v4, v5, s[0:1]
	v_mul_f32_e32 v4, 0x37800000, v3
	v_cndmask_b32_e32 v3, v3, v4, vcc
	v_cmp_class_f32_e32 vcc, v2, v79
	s_nop 1
	v_cndmask_b32_e32 v65, v3, v2, vcc
	v_div_scale_f32 v2, s[0:1], v65, v65, v27
	v_rcp_f32_e32 v3, v2
	s_nop 0
	v_fma_f32 v4, -v2, v3, 1.0
	v_fmac_f32_e32 v3, v4, v3
	v_div_scale_f32 v4, vcc, v27, v65, v27
	v_mul_f32_e32 v5, v4, v3
	v_fma_f32 v6, -v2, v5, v4
	v_fmac_f32_e32 v5, v6, v3
	v_fma_f32 v2, -v2, v5, v4
	v_div_scale_f32 v4, s[0:1], v65, v65, v26
	v_rcp_f32_e32 v6, v4
	v_div_fmas_f32 v2, v2, v3, v5
	v_div_fixup_f32 v3, v2, v65, v27
	v_fma_f32 v2, -v4, v6, 1.0
	v_fmac_f32_e32 v6, v2, v6
	v_div_scale_f32 v2, vcc, v26, v65, v26
	v_mul_f32_e32 v5, v2, v6
	v_fma_f32 v7, -v4, v5, v2
	v_fmac_f32_e32 v5, v7, v6
	v_fma_f32 v2, -v4, v5, v2
	v_div_fmas_f32 v2, v2, v6, v5
	v_div_fixup_f32 v2, v2, v65, v26
	v_mov_b32_e32 v6, v1
	v_pk_mul_f32 v[4:5], v[64:65], v[2:3] op_sel_hi:[0,1]
	v_pk_mul_f32 v[2:3], v[2:3], v[6:7] op_sel:[1,0] op_sel_hi:[0,0]
	v_pk_fma_f32 v[6:7], v[4:5], v[0:1], v[2:3] neg_lo:[0,0,1] neg_hi:[0,0,1]
	v_pk_fma_f32 v[2:3], v[4:5], v[0:1], v[2:3] op_sel_hi:[1,0,1]
	s_nop 0
	v_mov_b32_e32 v7, v3
	v_pk_fma_f32 v[26:27], v[26:27], v[28:29], v[6:7] op_sel_hi:[1,0,1]
	v_mov_b32_e32 v29, v0
	v_pk_mul_f32 v[0:1], v[64:65], v[28:29]
	s_nop 0
	v_sub_f32_e32 v64, v0, v1
                                        ; implicit-def: $vgpr0
.LBB1_362:                              ;   in Loop: Header=BB1_19 Depth=1
	s_andn2_saveexec_b64 s[0:1], s[4:5]
; %bb.363:                              ;   in Loop: Header=BB1_19 Depth=1
	v_mul_f32_e32 v64, v64, v28
	v_mov_b64_e32 v[26:27], v[0:1]
; %bb.364:                              ;   in Loop: Header=BB1_19 Depth=1
	s_or_b64 exec, exec, s[0:1]
.LBB1_365:                              ;   in Loop: Header=BB1_19 Depth=1
	s_or_b64 exec, exec, s[2:3]
	v_cndmask_b32_e64 v0, 0, 1, s[16:17]
	v_cmp_ne_u32_e32 vcc, 0, v0
	s_and_saveexec_b64 s[0:1], s[14:15]
	s_cbranch_execz .LBB1_367
; %bb.366:                              ;   in Loop: Header=BB1_19 Depth=1
	scratch_load_dwordx2 v[2:3], off, off offset:112 ; 8-byte Folded Reload
	s_bcnt1_i32_b32 s2, vcc_lo
	s_waitcnt vmcnt(0)
	flat_load_dword v0, v[2:3] sc0 sc1
	s_waitcnt vmcnt(0) lgkmcnt(0)
	v_add_u32_e32 v0, s2, v0
	flat_store_dword v[2:3], v0 sc0 sc1
	s_waitcnt vmcnt(0)
	flat_load_dword v0, v[50:51] sc0 sc1
	s_waitcnt vmcnt(0) lgkmcnt(0)
	v_add_u32_e32 v0, 1, v0
	flat_store_dword v[50:51], v0 sc0 sc1
	s_waitcnt vmcnt(0)
.LBB1_367:                              ;   in Loop: Header=BB1_19 Depth=1
	s_or_b64 exec, exec, s[0:1]
.LBB1_368:                              ;   in Loop: Header=BB1_19 Depth=1
	s_or_b64 s[2:3], s[18:19], s[16:17]
	v_cndmask_b32_e64 v0, 0, 1, s[2:3]
	v_cmp_ne_u32_e32 vcc, 0, v0
	s_cmp_eq_u64 vcc, exec
	s_cbranch_scc1 .LBB1_380
; %bb.369:                              ;   in Loop: Header=BB1_19 Depth=1
	v_mov_b32_e32 v0, 6
	v_cmp_eq_u16_sdwa vcc, v23, v0 src0_sel:BYTE_0 src1_sel:DWORD
	s_cbranch_vccz .LBB1_373
; %bb.370:                              ;   in Loop: Header=BB1_19 Depth=1
	s_nop 0
	v_cndmask_b32_e64 v0, 0, 1, vcc
	v_cmp_ne_u32_e64 s[0:1], 0, v0
	s_and_saveexec_b64 s[4:5], s[14:15]
	s_cbranch_execz .LBB1_372
; %bb.371:                              ;   in Loop: Header=BB1_19 Depth=1
	scratch_load_dwordx2 v[2:3], off, off offset:120 ; 8-byte Folded Reload
	s_bcnt1_i32_b32 s0, s0
	s_waitcnt vmcnt(0)
	flat_load_dword v0, v[2:3] sc0 sc1
	s_waitcnt vmcnt(0) lgkmcnt(0)
	v_add_u32_e32 v0, s0, v0
	flat_store_dword v[2:3], v0 sc0 sc1
	s_waitcnt vmcnt(0)
	flat_load_dword v0, v[50:51] sc0 sc1
	s_waitcnt vmcnt(0) lgkmcnt(0)
	v_add_u32_e32 v0, 1, v0
	flat_store_dword v[50:51], v0 sc0 sc1
	s_waitcnt vmcnt(0)
.LBB1_372:                              ;   in Loop: Header=BB1_19 Depth=1
	s_or_b64 exec, exec, s[4:5]
	v_cndmask_b32_e64 v23, v23, 8, vcc
.LBB1_373:                              ;   in Loop: Header=BB1_19 Depth=1
	s_or_b64 s[2:3], s[2:3], vcc
	v_cndmask_b32_e64 v0, 0, 1, s[2:3]
	v_cmp_ne_u32_e64 s[0:1], 0, v0
	s_cmp_eq_u64 s[0:1], exec
	s_cbranch_scc1 .LBB1_379
; %bb.374:                              ;   in Loop: Header=BB1_19 Depth=1
	v_cmp_eq_u16_sdwa vcc, v23, v41 src0_sel:BYTE_0 src1_sel:DWORD
	s_nop 1
	v_cndmask_b32_e64 v2, 0, 1, vcc
	s_cbranch_vccz .LBB1_378
; %bb.375:                              ;   in Loop: Header=BB1_19 Depth=1
	v_cndmask_b32_e64 v0, 0, 1, vcc
	v_cmp_ne_u32_e64 s[0:1], 0, v0
	s_and_saveexec_b64 s[4:5], s[14:15]
	s_cbranch_execz .LBB1_377
; %bb.376:                              ;   in Loop: Header=BB1_19 Depth=1
	flat_load_dword v0, v[38:39] sc0 sc1
	s_waitcnt vmcnt(0)
	s_bcnt1_i32_b32 s0, s0
	s_waitcnt lgkmcnt(0)
	v_add_u32_e32 v0, s0, v0
	flat_store_dword v[38:39], v0 sc0 sc1
	s_waitcnt vmcnt(0)
	flat_load_dword v0, v[50:51] sc0 sc1
	s_waitcnt vmcnt(0) lgkmcnt(0)
	v_add_u32_e32 v0, 1, v0
	flat_store_dword v[50:51], v0 sc0 sc1
	s_waitcnt vmcnt(0)
.LBB1_377:                              ;   in Loop: Header=BB1_19 Depth=1
	s_or_b64 exec, exec, s[4:5]
	v_cndmask_b32_e64 v23, v23, 8, vcc
.LBB1_378:                              ;   in Loop: Header=BB1_19 Depth=1
	s_nor_b64 s[0:1], s[2:3], vcc
	v_cndmask_b32_e64 v0, 0, 1, s[0:1]
	v_cmp_ne_u32_e32 vcc, 0, v0
	s_cmp_lg_u64 vcc, exec
	s_cselect_b64 s[0:1], -1, 0
	s_xor_b64 s[2:3], s[60:61], -1
	s_or_b64 s[0:1], s[2:3], s[0:1]
	s_branch .LBB1_382
.LBB1_379:                              ;   in Loop: Header=BB1_19 Depth=1
	v_cndmask_b32_e64 v2, 0, 1, vcc
	s_branch .LBB1_381
.LBB1_380:                              ;   in Loop: Header=BB1_19 Depth=1
	v_cndmask_b32_e64 v2, 0, 1, s[16:17]
.LBB1_381:                              ;   in Loop: Header=BB1_19 Depth=1
	s_mov_b64 s[0:1], -1
.LBB1_382:                              ;   in Loop: Header=BB1_19 Depth=1
	v_mov_b32_e32 v28, v64
	s_branch .LBB1_335
.LBB1_383:
	s_and_b64 vcc, exec, s[90:91]
	s_cbranch_vccz .LBB1_385
; %bb.384:
	v_mov_b32_e32 v29, v25
	s_branch .LBB1_386
.LBB1_385:
	v_mov_b64_e32 v[28:29], v[24:25]
.LBB1_386:
	scratch_load_dwordx2 v[44:45], off, off offset:72 ; 8-byte Folded Reload
	scratch_load_dwordx2 v[46:47], off, off offset:80 ; 8-byte Folded Reload
	;; [unrolled: 1-line block ×3, first 2 shown]
	v_cmp_gt_u32_e32 vcc, 9, v31
	s_waitcnt lgkmcnt(0)
	s_barrier
	s_and_saveexec_b64 s[0:1], vcc
	s_cbranch_execz .LBB1_388
; %bb.387:
	v_lshlrev_b32_e32 v0, 2, v31
	v_add_u32_e32 v3, 0x4000, v0
	ds_read2_b32 v[0:1], v3 offset0:80 offset1:89
	ds_read2_b32 v[4:5], v3 offset0:98 offset1:107
	;; [unrolled: 1-line block ×5, first 2 shown]
	s_waitcnt lgkmcnt(4)
	v_add_u32_e32 v0, v1, v0
	s_waitcnt lgkmcnt(3)
	v_add3_u32 v0, v4, v0, v5
	s_waitcnt lgkmcnt(2)
	v_add3_u32 v6, v6, v0, v7
	s_getpc_b64 s[2:3]
	s_add_u32 s2, s2, total_step_counts@rel32@lo+4
	s_addc_u32 s3, s3, total_step_counts@rel32@hi+12
	ds_read2_b32 v[0:1], v3 offset0:170 offset1:179
	ds_read2_b32 v[4:5], v3 offset0:188 offset1:197
	s_waitcnt lgkmcnt(3)
	v_add3_u32 v6, v8, v6, v9
	s_load_dwordx2 s[2:3], s[2:3], 0x0
	s_waitcnt lgkmcnt(0)
	v_add3_u32 v8, v10, v6, v11
	ds_read2_b32 v[6:7], v3 offset0:206 offset1:215
	v_add3_u32 v0, v0, v8, v1
	s_mul_i32 s5, s28, 0x48
	v_add3_u32 v0, v4, v0, v5
	s_mul_hi_u32 s4, s28, 0x48
	s_add_u32 s2, s2, s5
	s_waitcnt lgkmcnt(0)
	v_add3_u32 v0, v6, v0, v7
	v_mov_b32_e32 v1, 0
	s_addc_u32 s3, s3, s4
	v_lshlrev_b32_e32 v3, 3, v31
	global_store_dwordx2 v3, v[0:1], s[2:3]
.LBB1_388:
	s_or_b64 exec, exec, s[0:1]
	v_cmp_eq_u32_e32 vcc, 0, v31
	s_and_saveexec_b64 s[0:1], vcc
	s_cbranch_execz .LBB1_392
; %bb.389:
	s_mov_b64 s[2:3], src_shared_base
	v_mov_b32_e32 v0, 0x4480
	v_mov_b32_e32 v1, s3
	flat_load_dwordx2 v[4:5], v[0:1] sc0 sc1
	s_waitcnt vmcnt(0)
	v_mov_b32_e32 v0, 0x4488
	flat_load_dwordx2 v[6:7], v[0:1] sc0 sc1
	s_waitcnt vmcnt(0)
	;; [unrolled: 3-line block ×15, first 2 shown]
	v_mov_b32_e32 v0, 0x44f8
	flat_load_dwordx2 v[0:1], v[0:1] sc0 sc1
	s_waitcnt vmcnt(0) lgkmcnt(0)
	v_add_f64 v[4:5], v[4:5], 0
	v_add_f64 v[4:5], v[4:5], v[6:7]
	v_add_f64 v[4:5], v[4:5], v[8:9]
	v_add_f64 v[4:5], v[4:5], v[10:11]
	v_add_f64 v[4:5], v[4:5], v[12:13]
	v_add_f64 v[4:5], v[4:5], v[14:15]
	v_add_f64 v[4:5], v[4:5], v[16:17]
	v_add_f64 v[4:5], v[4:5], v[18:19]
	v_add_f64 v[4:5], v[4:5], v[20:21]
	v_add_f64 v[4:5], v[4:5], v[30:31]
	v_add_f64 v[4:5], v[4:5], v[32:33]
	v_add_f64 v[4:5], v[4:5], v[34:35]
	v_add_f64 v[4:5], v[4:5], v[36:37]
	v_add_f64 v[4:5], v[4:5], v[38:39]
	v_add_f64 v[4:5], v[4:5], v[40:41]
	v_add_f64 v[0:1], v[4:5], v[0:1]
	v_cmp_lt_f64_e32 vcc, 0, v[0:1]
	s_and_saveexec_b64 s[2:3], vcc
	s_cbranch_execz .LBB1_391
; %bb.390:
	s_getpc_b64 s[4:5]
	s_add_u32 s4, s4, total_weights@rel32@lo+4
	s_addc_u32 s5, s5, total_weights@rel32@hi+12
	s_load_dwordx2 s[4:5], s[4:5], 0x0
	s_lshl_b64 s[6:7], s[28:29], 3
	v_mov_b32_e32 v3, 0
	s_waitcnt lgkmcnt(0)
	s_add_u32 s4, s4, s6
	s_addc_u32 s5, s5, s7
	global_load_dwordx2 v[4:5], v3, s[4:5]
	s_waitcnt vmcnt(0)
	v_add_f64 v[0:1], v[0:1], v[4:5]
	global_store_dwordx2 v3, v[0:1], s[4:5]
.LBB1_391:
	s_or_b64 exec, exec, s[2:3]
	s_mov_b64 s[2:3], src_shared_base
	v_mov_b32_e32 v0, 0x4500
	v_mov_b32_e32 v1, s3
	flat_load_dword v3, v[0:1] sc0 sc1
	s_waitcnt vmcnt(0)
	v_mov_b32_e32 v0, 0x4540
	flat_load_dword v4, v[0:1] sc0 sc1
	s_waitcnt vmcnt(0)
	;; [unrolled: 3-line block ×32, first 2 shown]
	s_getpc_b64 s[2:3]
	s_add_u32 s2, s2, total_list_depth@rel32@lo+4
	s_addc_u32 s3, s3, total_list_depth@rel32@hi+12
	s_load_dwordx2 s[2:3], s[2:3], 0x0
	s_lshl_b64 s[4:5], s[28:29], 3
	v_mov_b32_e32 v1, 0
	v_mov_b32_e32 v5, v1
	s_waitcnt lgkmcnt(0)
	s_add_u32 s2, s2, s4
	s_addc_u32 s3, s3, s5
	s_getpc_b64 s[6:7]
	s_add_u32 s6, s6, total_num_inner_iterations@rel32@lo+4
	s_addc_u32 s7, s7, total_num_inner_iterations@rel32@hi+12
	s_load_dwordx2 s[6:7], s[6:7], 0x0
	s_waitcnt lgkmcnt(0)
	s_add_u32 s4, s6, s4
	s_addc_u32 s5, s7, s5
	v_add_u32_e32 v0, v6, v3
	v_add_u32_e32 v3, v7, v4
	v_add3_u32 v0, v8, v0, v10
	v_add3_u32 v3, v9, v3, v11
	;; [unrolled: 1-line block ×13, first 2 shown]
	global_store_dwordx2 v1, v[0:1], s[2:3]
	v_add3_u32 v4, v40, v3, v42
	global_store_dwordx2 v1, v[4:5], s[4:5]
.LBB1_392:
	s_or_b64 exec, exec, s[0:1]
	v_lshlrev_b32_e32 v0, 24, v2
	v_and_b32_e32 v1, 0xff, v76
	v_lshl_or_b32 v0, v1, 16, v0
	v_mov_b32_e32 v1, 8
	v_lshlrev_b32_sdwa v1, v1, v83 dst_sel:DWORD dst_unused:UNUSED_PAD src0_sel:DWORD src1_sel:BYTE_0
	v_and_b32_e32 v2, 0xff, v23
	v_or3_b32 v0, v0, v1, v2
	v_mov_b32_e32 v1, v68
	v_mov_b32_e32 v2, v69
	;; [unrolled: 1-line block ×3, first 2 shown]
	s_waitcnt vmcnt(2)
	global_store_dwordx4 v[44:45], v[0:3], off
	v_mov_b32_e32 v23, v54
	v_mov_b32_e32 v24, v55
	v_lshl_add_u32 v2, s28, 11, v73
	s_mov_b64 s[0:1], 0
	v_mov_b32_e32 v1, 0
	s_movk_i32 s2, 0x44
	s_waitcnt vmcnt(2)
	global_store_dwordx4 v[46:47], v[22:25], off
	s_waitcnt vmcnt(2)
	global_store_dwordx4 v[48:49], v[26:29], off
.LBB1_393:                              ; =>This Inner Loop Header: Depth=1
	ds_read_b32 v3, v72
	v_add_u32_e32 v0, v2, v126
	v_add_u32_e32 v6, 32, v126
	v_cmp_lt_u32_e32 vcc, s2, v126
	v_add_u32_e32 v72, 0x80, v72
	v_lshl_add_u64 v[4:5], v[0:1], 2, s[34:35]
	s_or_b64 s[0:1], vcc, s[0:1]
	v_mov_b32_e32 v126, v6
	s_waitcnt lgkmcnt(0)
	global_store_dword v[4:5], v3, off
	s_andn2_b64 exec, exec, s[0:1]
	s_cbranch_execnz .LBB1_393
; %bb.394:
	s_endpgm
	.section	.rodata,"a",@progbits
	.p2align	6, 0x0
	.amdhsa_kernel _Z22simulation_step_kernelbb
		.amdhsa_group_segment_fixed_size 17808
		.amdhsa_private_segment_fixed_size 144
		.amdhsa_kernarg_size 264
		.amdhsa_user_sgpr_count 2
		.amdhsa_user_sgpr_dispatch_ptr 0
		.amdhsa_user_sgpr_queue_ptr 0
		.amdhsa_user_sgpr_kernarg_segment_ptr 1
		.amdhsa_user_sgpr_dispatch_id 0
		.amdhsa_user_sgpr_kernarg_preload_length 0
		.amdhsa_user_sgpr_kernarg_preload_offset 0
		.amdhsa_user_sgpr_private_segment_size 0
		.amdhsa_uses_dynamic_stack 0
		.amdhsa_enable_private_segment 1
		.amdhsa_system_sgpr_workgroup_id_x 1
		.amdhsa_system_sgpr_workgroup_id_y 1
		.amdhsa_system_sgpr_workgroup_id_z 0
		.amdhsa_system_sgpr_workgroup_info 0
		.amdhsa_system_vgpr_workitem_id 0
		.amdhsa_next_free_vgpr 128
		.amdhsa_next_free_sgpr 100
		.amdhsa_accum_offset 128
		.amdhsa_reserve_vcc 1
		.amdhsa_float_round_mode_32 0
		.amdhsa_float_round_mode_16_64 0
		.amdhsa_float_denorm_mode_32 3
		.amdhsa_float_denorm_mode_16_64 3
		.amdhsa_dx10_clamp 1
		.amdhsa_ieee_mode 1
		.amdhsa_fp16_overflow 0
		.amdhsa_tg_split 0
		.amdhsa_exception_fp_ieee_invalid_op 0
		.amdhsa_exception_fp_denorm_src 0
		.amdhsa_exception_fp_ieee_div_zero 0
		.amdhsa_exception_fp_ieee_overflow 0
		.amdhsa_exception_fp_ieee_underflow 0
		.amdhsa_exception_fp_ieee_inexact 0
		.amdhsa_exception_int_div_zero 0
	.end_amdhsa_kernel
	.text
.Lfunc_end1:
	.size	_Z22simulation_step_kernelbb, .Lfunc_end1-_Z22simulation_step_kernelbb
                                        ; -- End function
	.set _Z22simulation_step_kernelbb.num_vgpr, max(128, .L_Z17MT_generate_arrayv.num_vgpr)
	.set _Z22simulation_step_kernelbb.num_agpr, max(0, .L_Z17MT_generate_arrayv.num_agpr)
	.set _Z22simulation_step_kernelbb.numbered_sgpr, max(100, .L_Z17MT_generate_arrayv.numbered_sgpr)
	.set _Z22simulation_step_kernelbb.num_named_barrier, max(0, .L_Z17MT_generate_arrayv.num_named_barrier)
	.set _Z22simulation_step_kernelbb.private_seg_size, 144+max(.L_Z17MT_generate_arrayv.private_seg_size)
	.set _Z22simulation_step_kernelbb.uses_vcc, or(1, .L_Z17MT_generate_arrayv.uses_vcc)
	.set _Z22simulation_step_kernelbb.uses_flat_scratch, or(0, .L_Z17MT_generate_arrayv.uses_flat_scratch)
	.set _Z22simulation_step_kernelbb.has_dyn_sized_stack, or(0, .L_Z17MT_generate_arrayv.has_dyn_sized_stack)
	.set _Z22simulation_step_kernelbb.has_recursion, or(0, .L_Z17MT_generate_arrayv.has_recursion)
	.set _Z22simulation_step_kernelbb.has_indirect_call, or(0, .L_Z17MT_generate_arrayv.has_indirect_call)
	.section	.AMDGPU.csdata,"",@progbits
; Kernel info:
; codeLenInByte = 19340
; TotalNumSgprs: 106
; NumVgprs: 128
; NumAgprs: 0
; TotalNumVgprs: 128
; ScratchSize: 144
; MemoryBound: 1
; FloatMode: 240
; IeeeMode: 1
; LDSByteSize: 17808 bytes/workgroup (compile time only)
; SGPRBlocks: 13
; VGPRBlocks: 15
; NumSGPRsForWavesPerEU: 106
; NumVGPRsForWavesPerEU: 128
; AccumOffset: 128
; Occupancy: 4
; WaveLimiterHint : 1
; COMPUTE_PGM_RSRC2:SCRATCH_EN: 1
; COMPUTE_PGM_RSRC2:USER_SGPR: 2
; COMPUTE_PGM_RSRC2:TRAP_HANDLER: 0
; COMPUTE_PGM_RSRC2:TGID_X_EN: 1
; COMPUTE_PGM_RSRC2:TGID_Y_EN: 1
; COMPUTE_PGM_RSRC2:TGID_Z_EN: 0
; COMPUTE_PGM_RSRC2:TIDIG_COMP_CNT: 0
; COMPUTE_PGM_RSRC3_GFX90A:ACCUM_OFFSET: 31
; COMPUTE_PGM_RSRC3_GFX90A:TG_SPLIT: 0
	.text
	.protected	_Z26sum_detector_scores_kernelv ; -- Begin function _Z26sum_detector_scores_kernelv
	.globl	_Z26sum_detector_scores_kernelv
	.p2align	8
	.type	_Z26sum_detector_scores_kernelv,@function
_Z26sum_detector_scores_kernelv:        ; @_Z26sum_detector_scores_kernelv
; %bb.6:
	s_load_dwordx2 s[2:3], s[0:1], 0x0
	s_load_dwordx2 s[4:5], s[0:1], 0x8
	s_waitcnt lgkmcnt(0)
	s_branch .LBB2_0
	.p2align	8
; %bb.7:
.LBB2_0:
	s_getpc_b64 s[0:1]
	s_add_u32 s0, s0, detector@rel32@lo+28
	s_addc_u32 s1, s1, detector@rel32@hi+36
	s_load_dwordx2 s[0:1], s[0:1], 0x0
	s_waitcnt lgkmcnt(0)
	s_mul_i32 s7, s1, s0
	v_cmp_gt_u32_e32 vcc, s7, v0
	s_and_saveexec_b64 s[0:1], vcc
	s_cbranch_execz .LBB2_5
; %bb.1:
	s_and_b32 s4, s6, 3
	s_getpc_b64 s[0:1]
	s_add_u32 s0, s0, detector_totals_energy@rel32@lo+4
	s_addc_u32 s1, s1, detector_totals_energy@rel32@hi+12
	s_getpc_b64 s[2:3]
	s_add_u32 s2, s2, detector_totals_count@rel32@lo+4
	s_addc_u32 s3, s3, detector_totals_count@rel32@hi+12
	s_lshl_b32 s4, s4, 3
	s_getpc_b64 s[8:9]
	s_add_u32 s8, s8, detector_scores_energy@rel32@lo+4
	s_addc_u32 s9, s9, detector_scores_energy@rel32@hi+12
	s_getpc_b64 s[10:11]
	s_add_u32 s10, s10, detector_scores_count@rel32@lo+4
	s_addc_u32 s11, s11, detector_scores_count@rel32@hi+12
	s_cmp_lt_u32 s6, 4
	s_cselect_b32 s1, s1, s3
	s_cselect_b32 s0, s0, s2
	s_load_dwordx2 s[0:1], s[0:1], s4 offset:0x0
	s_cselect_b32 s3, s8, s10
	s_cselect_b32 s2, s9, s11
	s_add_u32 s6, s3, s4
	s_addc_u32 s8, s2, 0
	s_and_b32 s9, 0xffff, s5
	s_mov_b64 s[2:3], 0
	v_mov_b32_e32 v1, 0
.LBB2_2:                                ; =>This Loop Header: Depth=1
                                        ;     Child Loop BB2_3 Depth 2
	v_mov_b64_e32 v[4:5], 0
	v_lshlrev_b64 v[2:3], 2, v[0:1]
	s_mov_b64 s[4:5], 0
.LBB2_3:                                ;   Parent Loop BB2_2 Depth=1
                                        ; =>  This Inner Loop Header: Depth=2
	s_add_u32 s10, s6, s4
	s_addc_u32 s11, s8, s5
	s_load_dwordx2 s[12:13], s[10:11], 0x0
	s_load_dwordx2 s[14:15], s[10:11], 0x20
	;; [unrolled: 1-line block ×15, first 2 shown]
	s_nop 0
	s_load_dwordx2 s[10:11], s[10:11], 0x1e0
	s_waitcnt lgkmcnt(0)
	v_lshl_add_u64 v[6:7], s[12:13], 0, v[2:3]
	v_lshl_add_u64 v[8:9], s[14:15], 0, v[2:3]
	;; [unrolled: 1-line block ×16, first 2 shown]
	global_load_dword v38, v[6:7], off
	global_load_dword v39, v[8:9], off
	;; [unrolled: 1-line block ×15, first 2 shown]
                                        ; kill: killed $vgpr18_vgpr19
                                        ; kill: killed $vgpr20_vgpr21
                                        ; kill: killed $vgpr22_vgpr23
                                        ; kill: killed $vgpr24_vgpr25
                                        ; kill: killed $vgpr26_vgpr27
                                        ; kill: killed $vgpr8_vgpr9
                                        ; kill: killed $vgpr28_vgpr29
                                        ; kill: killed $vgpr10_vgpr11
                                        ; kill: killed $vgpr30_vgpr31
                                        ; kill: killed $vgpr12_vgpr13
                                        ; kill: killed $vgpr32_vgpr33
                                        ; kill: killed $vgpr6_vgpr7
                                        ; kill: killed $vgpr14_vgpr15
                                        ; kill: killed $vgpr34_vgpr35
                                        ; kill: killed $vgpr16_vgpr17
	s_nop 0
	global_load_dword v36, v[36:37], off
	s_add_u32 s4, s4, 0x200
	s_addc_u32 s5, s5, 0
	s_cmpk_eq_i32 s4, 0xa00
	s_waitcnt vmcnt(15)
	v_cvt_f64_f32_e32 v[6:7], v38
	s_waitcnt vmcnt(14)
	v_cvt_f64_f32_e32 v[8:9], v39
	v_add_f64 v[4:5], v[4:5], v[6:7]
	s_waitcnt vmcnt(13)
	v_cvt_f64_f32_e32 v[10:11], v40
	v_add_f64 v[4:5], v[4:5], v[8:9]
	;; [unrolled: 3-line block ×14, first 2 shown]
	v_add_f64 v[4:5], v[4:5], v[34:35]
	s_waitcnt vmcnt(0)
	v_cvt_f64_f32_e32 v[36:37], v36
	v_add_f64 v[4:5], v[4:5], v[36:37]
	s_cbranch_scc0 .LBB2_3
; %bb.4:                                ;   in Loop: Header=BB2_2 Depth=1
	v_lshl_add_u64 v[2:3], v[0:1], 3, s[0:1]
	global_load_dwordx2 v[6:7], v[2:3], off
	v_add_u32_e32 v0, s9, v0
	v_cmp_le_u32_e32 vcc, s7, v0
	s_or_b64 s[2:3], vcc, s[2:3]
	s_waitcnt vmcnt(0)
	v_add_f64 v[4:5], v[4:5], v[6:7]
	global_store_dwordx2 v[2:3], v[4:5], off
	s_andn2_b64 exec, exec, s[2:3]
	s_cbranch_execnz .LBB2_2
.LBB2_5:
	s_endpgm
	.section	.rodata,"a",@progbits
	.p2align	6, 0x0
	.amdhsa_kernel _Z26sum_detector_scores_kernelv
		.amdhsa_group_segment_fixed_size 0
		.amdhsa_private_segment_fixed_size 0
		.amdhsa_kernarg_size 256
		.amdhsa_user_sgpr_count 6
		.amdhsa_user_sgpr_dispatch_ptr 0
		.amdhsa_user_sgpr_queue_ptr 0
		.amdhsa_user_sgpr_kernarg_segment_ptr 1
		.amdhsa_user_sgpr_dispatch_id 0
		.amdhsa_user_sgpr_kernarg_preload_length 4
		.amdhsa_user_sgpr_kernarg_preload_offset 0
		.amdhsa_user_sgpr_private_segment_size 0
		.amdhsa_uses_dynamic_stack 0
		.amdhsa_enable_private_segment 0
		.amdhsa_system_sgpr_workgroup_id_x 1
		.amdhsa_system_sgpr_workgroup_id_y 0
		.amdhsa_system_sgpr_workgroup_id_z 0
		.amdhsa_system_sgpr_workgroup_info 0
		.amdhsa_system_vgpr_workitem_id 0
		.amdhsa_next_free_vgpr 53
		.amdhsa_next_free_sgpr 44
		.amdhsa_accum_offset 56
		.amdhsa_reserve_vcc 1
		.amdhsa_float_round_mode_32 0
		.amdhsa_float_round_mode_16_64 0
		.amdhsa_float_denorm_mode_32 3
		.amdhsa_float_denorm_mode_16_64 3
		.amdhsa_dx10_clamp 1
		.amdhsa_ieee_mode 1
		.amdhsa_fp16_overflow 0
		.amdhsa_tg_split 0
		.amdhsa_exception_fp_ieee_invalid_op 0
		.amdhsa_exception_fp_denorm_src 0
		.amdhsa_exception_fp_ieee_div_zero 0
		.amdhsa_exception_fp_ieee_overflow 0
		.amdhsa_exception_fp_ieee_underflow 0
		.amdhsa_exception_fp_ieee_inexact 0
		.amdhsa_exception_int_div_zero 0
	.end_amdhsa_kernel
	.text
.Lfunc_end2:
	.size	_Z26sum_detector_scores_kernelv, .Lfunc_end2-_Z26sum_detector_scores_kernelv
                                        ; -- End function
	.set _Z26sum_detector_scores_kernelv.num_vgpr, 53
	.set _Z26sum_detector_scores_kernelv.num_agpr, 0
	.set _Z26sum_detector_scores_kernelv.numbered_sgpr, 44
	.set _Z26sum_detector_scores_kernelv.num_named_barrier, 0
	.set _Z26sum_detector_scores_kernelv.private_seg_size, 0
	.set _Z26sum_detector_scores_kernelv.uses_vcc, 1
	.set _Z26sum_detector_scores_kernelv.uses_flat_scratch, 0
	.set _Z26sum_detector_scores_kernelv.has_dyn_sized_stack, 0
	.set _Z26sum_detector_scores_kernelv.has_recursion, 0
	.set _Z26sum_detector_scores_kernelv.has_indirect_call, 0
	.section	.AMDGPU.csdata,"",@progbits
; Kernel info:
; codeLenInByte = 1200
; TotalNumSgprs: 50
; NumVgprs: 53
; NumAgprs: 0
; TotalNumVgprs: 53
; ScratchSize: 0
; MemoryBound: 0
; FloatMode: 240
; IeeeMode: 1
; LDSByteSize: 0 bytes/workgroup (compile time only)
; SGPRBlocks: 6
; VGPRBlocks: 6
; NumSGPRsForWavesPerEU: 50
; NumVGPRsForWavesPerEU: 53
; AccumOffset: 56
; Occupancy: 8
; WaveLimiterHint : 0
; COMPUTE_PGM_RSRC2:SCRATCH_EN: 0
; COMPUTE_PGM_RSRC2:USER_SGPR: 6
; COMPUTE_PGM_RSRC2:TRAP_HANDLER: 0
; COMPUTE_PGM_RSRC2:TGID_X_EN: 1
; COMPUTE_PGM_RSRC2:TGID_Y_EN: 0
; COMPUTE_PGM_RSRC2:TGID_Z_EN: 0
; COMPUTE_PGM_RSRC2:TIDIG_COMP_CNT: 0
; COMPUTE_PGM_RSRC3_GFX90A:ACCUM_OFFSET: 13
; COMPUTE_PGM_RSRC3_GFX90A:TG_SPLIT: 0
	.text
	.p2alignl 6, 3212836864
	.fill 256, 4, 3212836864
	.section	.AMDGPU.gpr_maximums,"",@progbits
	.set amdgpu.max_num_vgpr, 32
	.set amdgpu.max_num_agpr, 0
	.set amdgpu.max_num_sgpr, 32
	.text
	.protected	stack                   ; @stack
	.type	stack,@object
	.section	.rodata,"a",@progbits
	.globl	stack
	.p2align	3, 0x0
stack:
	.zero	24
	.size	stack, 24

	.protected	total_list_depth        ; @total_list_depth
	.type	total_list_depth,@object
	.globl	total_list_depth
	.p2align	3, 0x0
total_list_depth:
	.quad	0
	.size	total_list_depth, 8

	.protected	total_num_inner_iterations ; @total_num_inner_iterations
	.type	total_num_inner_iterations,@object
	.globl	total_num_inner_iterations
	.p2align	3, 0x0
total_num_inner_iterations:
	.quad	0
	.size	total_num_inner_iterations, 8

	.protected	detector_scores_count   ; @detector_scores_count
	.type	detector_scores_count,@object
	.globl	detector_scores_count
	.p2align	4, 0x0
detector_scores_count:
	.zero	2560
	.size	detector_scores_count, 2560

	.protected	detector_scores_energy  ; @detector_scores_energy
	.type	detector_scores_energy,@object
	.globl	detector_scores_energy
	.p2align	4, 0x0
detector_scores_energy:
	.zero	2560
	.size	detector_scores_energy, 2560

	.protected	detector_totals_count   ; @detector_totals_count
	.type	detector_totals_count,@object
	.globl	detector_totals_count
	.p2align	4, 0x0
detector_totals_count:
	.zero	32
	.size	detector_totals_count, 32

	.protected	detector_totals_energy  ; @detector_totals_energy
	.type	detector_totals_energy,@object
	.globl	detector_totals_energy
	.p2align	4, 0x0
detector_totals_energy:
	.zero	32
	.size	detector_totals_energy, 32

	.protected	total_weights           ; @total_weights
	.type	total_weights,@object
	.globl	total_weights
	.p2align	3, 0x0
total_weights:
	.quad	0
	.size	total_weights, 8

	.protected	total_step_counts       ; @total_step_counts
	.type	total_step_counts,@object
	.globl	total_step_counts
	.p2align	3, 0x0
total_step_counts:
	.quad	0
	.size	total_step_counts, 8

	.protected	MT_statuses             ; @MT_statuses
	.type	MT_statuses,@object
	.globl	MT_statuses
	.p2align	3, 0x0
MT_statuses:
	.quad	0
	.size	MT_statuses, 8

	.protected	MT_params               ; @MT_params
	.type	MT_params,@object
	.globl	MT_params
	.p2align	3, 0x0
MT_params:
	.quad	0
	.size	MT_params, 8

	.protected	MT_tables               ; @MT_tables
	.type	MT_tables,@object
	.globl	MT_tables
	.p2align	3, 0x0
MT_tables:
	.quad	0
	.size	MT_tables, 8

	.protected	detector                ; @detector
	.type	detector,@object
	.globl	detector
	.p2align	3, 0x0
detector:
	.zero	32
	.size	detector, 32

	.protected	source                  ; @source
	.type	source,@object
	.globl	source
	.p2align	3, 0x0
source:
	.zero	80
	.size	source, 80

	.protected	phantom                 ; @phantom
	.type	phantom,@object
	.globl	phantom
	.p2align	3, 0x0
phantom:
	.zero	40
	.size	phantom, 40

	.protected	region_data             ; @region_data
	.type	region_data,@object
	.globl	region_data
	.p2align	3, 0x0
region_data:
	.quad	0
	.size	region_data, 8

	.protected	ge                      ; @ge
	.type	ge,@object
	.globl	ge
	.p2align	3, 0x0
ge:
	.quad	0
	.size	ge, 8

	.protected	gmfp                    ; @gmfp
	.type	gmfp,@object
	.globl	gmfp
	.p2align	3, 0x0
gmfp:
	.quad	0
	.size	gmfp, 8

	.protected	gbr1                    ; @gbr1
	.type	gbr1,@object
	.globl	gbr1
	.p2align	3, 0x0
gbr1:
	.quad	0
	.size	gbr1, 8

	.protected	gbr2                    ; @gbr2
	.type	gbr2,@object
	.globl	gbr2
	.p2align	3, 0x0
gbr2:
	.quad	0
	.size	gbr2, 8

	.protected	cohe                    ; @cohe
	.type	cohe,@object
	.globl	cohe
	.p2align	3, 0x0
cohe:
	.quad	0
	.size	cohe, 8

	.protected	pmax                    ; @pmax
	.type	pmax,@object
	.globl	pmax
	.p2align	3, 0x0
pmax:
	.quad	0
	.size	pmax, 8

	.protected	rayleigh_data           ; @rayleigh_data
	.type	rayleigh_data,@object
	.globl	rayleigh_data
	.p2align	3, 0x0
rayleigh_data:
	.quad	0
	.size	rayleigh_data, 8

	.protected	i_array                 ; @i_array
	.type	i_array,@object
	.globl	i_array
	.p2align	3, 0x0
i_array:
	.quad	0
	.size	i_array, 8

	.type	__hip_cuid_24db3e7ece8d983b,@object ; @__hip_cuid_24db3e7ece8d983b
	.section	.bss,"aw",@nobits
	.globl	__hip_cuid_24db3e7ece8d983b
__hip_cuid_24db3e7ece8d983b:
	.byte	0                               ; 0x0
	.size	__hip_cuid_24db3e7ece8d983b, 1

	.ident	"AMD clang version 22.0.0git (https://github.com/RadeonOpenCompute/llvm-project roc-7.2.4 26084 f58b06dce1f9c15707c5f808fd002e18c2accf7e)"
	.section	".note.GNU-stack","",@progbits
	.addrsig
	.addrsig_sym stack
	.addrsig_sym total_list_depth
	.addrsig_sym total_num_inner_iterations
	.addrsig_sym detector_scores_count
	.addrsig_sym detector_scores_energy
	.addrsig_sym detector_totals_count
	.addrsig_sym detector_totals_energy
	.addrsig_sym total_weights
	.addrsig_sym total_step_counts
	.addrsig_sym MT_statuses
	.addrsig_sym MT_params
	.addrsig_sym MT_tables
	.addrsig_sym detector
	.addrsig_sym source
	.addrsig_sym phantom
	.addrsig_sym region_data
	.addrsig_sym ge
	.addrsig_sym gmfp
	.addrsig_sym gbr1
	.addrsig_sym gbr2
	.addrsig_sym cohe
	.addrsig_sym pmax
	.addrsig_sym rayleigh_data
	.addrsig_sym i_array
	.addrsig_sym __hip_cuid_24db3e7ece8d983b
	.amdgpu_metadata
---
amdhsa.kernels:
  - .agpr_count:     0
    .args:
      - .offset:         0
        .size:           1
        .value_kind:     by_value
      - .offset:         1
        .size:           1
        .value_kind:     by_value
      - .offset:         8
        .size:           4
        .value_kind:     hidden_block_count_x
      - .offset:         12
        .size:           4
        .value_kind:     hidden_block_count_y
      - .offset:         16
        .size:           4
        .value_kind:     hidden_block_count_z
      - .offset:         20
        .size:           2
        .value_kind:     hidden_group_size_x
      - .offset:         22
        .size:           2
        .value_kind:     hidden_group_size_y
      - .offset:         24
        .size:           2
        .value_kind:     hidden_group_size_z
      - .offset:         26
        .size:           2
        .value_kind:     hidden_remainder_x
      - .offset:         28
        .size:           2
        .value_kind:     hidden_remainder_y
      - .offset:         30
        .size:           2
        .value_kind:     hidden_remainder_z
      - .offset:         48
        .size:           8
        .value_kind:     hidden_global_offset_x
      - .offset:         56
        .size:           8
        .value_kind:     hidden_global_offset_y
      - .offset:         64
        .size:           8
        .value_kind:     hidden_global_offset_z
      - .offset:         72
        .size:           2
        .value_kind:     hidden_grid_dims
    .group_segment_fixed_size: 17808
    .kernarg_segment_align: 8
    .kernarg_segment_size: 264
    .language:       OpenCL C
    .language_version:
      - 2
      - 0
    .max_flat_workgroup_size: 1024
    .name:           _Z22simulation_step_kernelbb
    .private_segment_fixed_size: 144
    .sgpr_count:     106
    .sgpr_spill_count: 25
    .symbol:         _Z22simulation_step_kernelbb.kd
    .uniform_work_group_size: 1
    .uses_dynamic_stack: false
    .vgpr_count:     128
    .vgpr_spill_count: 32
    .wavefront_size: 64
  - .agpr_count:     0
    .args:
      - .offset:         0
        .size:           4
        .value_kind:     hidden_block_count_x
      - .offset:         4
        .size:           4
        .value_kind:     hidden_block_count_y
      - .offset:         8
        .size:           4
        .value_kind:     hidden_block_count_z
      - .offset:         12
        .size:           2
        .value_kind:     hidden_group_size_x
      - .offset:         14
        .size:           2
        .value_kind:     hidden_group_size_y
      - .offset:         16
        .size:           2
        .value_kind:     hidden_group_size_z
      - .offset:         18
        .size:           2
        .value_kind:     hidden_remainder_x
      - .offset:         20
        .size:           2
        .value_kind:     hidden_remainder_y
      - .offset:         22
        .size:           2
        .value_kind:     hidden_remainder_z
      - .offset:         40
        .size:           8
        .value_kind:     hidden_global_offset_x
      - .offset:         48
        .size:           8
        .value_kind:     hidden_global_offset_y
      - .offset:         56
        .size:           8
        .value_kind:     hidden_global_offset_z
      - .offset:         64
        .size:           2
        .value_kind:     hidden_grid_dims
    .group_segment_fixed_size: 0
    .kernarg_segment_align: 8
    .kernarg_segment_size: 256
    .language:       OpenCL C
    .language_version:
      - 2
      - 0
    .max_flat_workgroup_size: 1024
    .name:           _Z26sum_detector_scores_kernelv
    .private_segment_fixed_size: 0
    .sgpr_count:     50
    .sgpr_spill_count: 0
    .symbol:         _Z26sum_detector_scores_kernelv.kd
    .uniform_work_group_size: 1
    .uses_dynamic_stack: false
    .vgpr_count:     53
    .vgpr_spill_count: 0
    .wavefront_size: 64
amdhsa.target:   amdgcn-amd-amdhsa--gfx950
amdhsa.version:
  - 1
  - 2
...

	.end_amdgpu_metadata
